;; amdgpu-corpus repo=ROCm/rocFFT kind=compiled arch=gfx1030 opt=O3
	.text
	.amdgcn_target "amdgcn-amd-amdhsa--gfx1030"
	.amdhsa_code_object_version 6
	.protected	fft_rtc_fwd_len748_factors_17_4_11_wgs_204_tpt_68_halfLds_sp_op_CI_CI_sbrr_dirReg ; -- Begin function fft_rtc_fwd_len748_factors_17_4_11_wgs_204_tpt_68_halfLds_sp_op_CI_CI_sbrr_dirReg
	.globl	fft_rtc_fwd_len748_factors_17_4_11_wgs_204_tpt_68_halfLds_sp_op_CI_CI_sbrr_dirReg
	.p2align	8
	.type	fft_rtc_fwd_len748_factors_17_4_11_wgs_204_tpt_68_halfLds_sp_op_CI_CI_sbrr_dirReg,@function
fft_rtc_fwd_len748_factors_17_4_11_wgs_204_tpt_68_halfLds_sp_op_CI_CI_sbrr_dirReg: ; @fft_rtc_fwd_len748_factors_17_4_11_wgs_204_tpt_68_halfLds_sp_op_CI_CI_sbrr_dirReg
; %bb.0:
	s_clause 0x1
	s_load_dwordx4 s[16:19], s[4:5], 0x18
	s_load_dwordx4 s[12:15], s[4:5], 0x0
	v_mul_u32_u24_e32 v1, 0x3c4, v0
	v_mov_b32_e32 v14, 0
	v_mov_b32_e32 v15, 0
	s_load_dwordx4 s[8:11], s[4:5], 0x58
	s_waitcnt lgkmcnt(0)
	s_load_dwordx2 s[20:21], s[16:17], 0x0
	s_load_dwordx2 s[2:3], s[18:19], 0x0
	v_lshrrev_b32_e32 v2, 16, v1
	v_mov_b32_e32 v1, 0
	v_cmp_lt_u64_e64 s0, s[14:15], 2
	v_mov_b32_e32 v21, v15
	v_mov_b32_e32 v20, v14
	v_mad_u64_u32 v[12:13], null, s6, 3, v[2:3]
	v_mov_b32_e32 v13, v1
	s_and_b32 vcc_lo, exec_lo, s0
	v_mov_b32_e32 v23, v13
	v_mov_b32_e32 v22, v12
	s_cbranch_vccnz .LBB0_8
; %bb.1:
	s_load_dwordx2 s[0:1], s[4:5], 0x10
	v_mov_b32_e32 v14, 0
	v_mov_b32_e32 v15, 0
	s_add_u32 s6, s18, 8
	v_mov_b32_e32 v3, v12
	s_addc_u32 s7, s19, 0
	v_mov_b32_e32 v4, v13
	v_mov_b32_e32 v21, v15
	s_add_u32 s22, s16, 8
	v_mov_b32_e32 v20, v14
	s_addc_u32 s23, s17, 0
	s_mov_b64 s[26:27], 1
	s_waitcnt lgkmcnt(0)
	s_add_u32 s24, s0, 8
	s_addc_u32 s25, s1, 0
.LBB0_2:                                ; =>This Inner Loop Header: Depth=1
	s_load_dwordx2 s[28:29], s[24:25], 0x0
                                        ; implicit-def: $vgpr22_vgpr23
	s_mov_b32 s0, exec_lo
	s_waitcnt lgkmcnt(0)
	v_or_b32_e32 v2, s29, v4
	v_cmpx_ne_u64_e32 0, v[1:2]
	s_xor_b32 s1, exec_lo, s0
	s_cbranch_execz .LBB0_4
; %bb.3:                                ;   in Loop: Header=BB0_2 Depth=1
	v_cvt_f32_u32_e32 v2, s28
	v_cvt_f32_u32_e32 v5, s29
	s_sub_u32 s0, 0, s28
	s_subb_u32 s30, 0, s29
	v_fmac_f32_e32 v2, 0x4f800000, v5
	v_rcp_f32_e32 v2, v2
	v_mul_f32_e32 v2, 0x5f7ffffc, v2
	v_mul_f32_e32 v5, 0x2f800000, v2
	v_trunc_f32_e32 v5, v5
	v_fmac_f32_e32 v2, 0xcf800000, v5
	v_cvt_u32_f32_e32 v5, v5
	v_cvt_u32_f32_e32 v2, v2
	v_mul_lo_u32 v6, s0, v5
	v_mul_hi_u32 v7, s0, v2
	v_mul_lo_u32 v8, s30, v2
	v_add_nc_u32_e32 v6, v7, v6
	v_mul_lo_u32 v7, s0, v2
	v_add_nc_u32_e32 v6, v6, v8
	v_mul_hi_u32 v8, v2, v7
	v_mul_lo_u32 v9, v2, v6
	v_mul_hi_u32 v10, v2, v6
	v_mul_hi_u32 v11, v5, v7
	v_mul_lo_u32 v7, v5, v7
	v_mul_hi_u32 v13, v5, v6
	v_mul_lo_u32 v6, v5, v6
	v_add_co_u32 v8, vcc_lo, v8, v9
	v_add_co_ci_u32_e32 v9, vcc_lo, 0, v10, vcc_lo
	v_add_co_u32 v7, vcc_lo, v8, v7
	v_add_co_ci_u32_e32 v7, vcc_lo, v9, v11, vcc_lo
	v_add_co_ci_u32_e32 v8, vcc_lo, 0, v13, vcc_lo
	v_add_co_u32 v6, vcc_lo, v7, v6
	v_add_co_ci_u32_e32 v7, vcc_lo, 0, v8, vcc_lo
	v_add_co_u32 v2, vcc_lo, v2, v6
	v_add_co_ci_u32_e32 v5, vcc_lo, v5, v7, vcc_lo
	v_mul_hi_u32 v6, s0, v2
	v_mul_lo_u32 v8, s30, v2
	v_mul_lo_u32 v7, s0, v5
	v_add_nc_u32_e32 v6, v6, v7
	v_mul_lo_u32 v7, s0, v2
	v_add_nc_u32_e32 v6, v6, v8
	v_mul_hi_u32 v8, v2, v7
	v_mul_lo_u32 v9, v2, v6
	v_mul_hi_u32 v10, v2, v6
	v_mul_hi_u32 v11, v5, v7
	v_mul_lo_u32 v7, v5, v7
	v_mul_hi_u32 v13, v5, v6
	v_mul_lo_u32 v6, v5, v6
	v_add_co_u32 v8, vcc_lo, v8, v9
	v_add_co_ci_u32_e32 v9, vcc_lo, 0, v10, vcc_lo
	v_add_co_u32 v7, vcc_lo, v8, v7
	v_add_co_ci_u32_e32 v7, vcc_lo, v9, v11, vcc_lo
	v_add_co_ci_u32_e32 v8, vcc_lo, 0, v13, vcc_lo
	v_add_co_u32 v6, vcc_lo, v7, v6
	v_add_co_ci_u32_e32 v7, vcc_lo, 0, v8, vcc_lo
	v_add_co_u32 v2, vcc_lo, v2, v6
	v_add_co_ci_u32_e32 v9, vcc_lo, v5, v7, vcc_lo
	v_mul_hi_u32 v11, v3, v2
	v_mad_u64_u32 v[7:8], null, v4, v2, 0
	v_mad_u64_u32 v[5:6], null, v3, v9, 0
	v_mad_u64_u32 v[9:10], null, v4, v9, 0
	v_add_co_u32 v2, vcc_lo, v11, v5
	v_add_co_ci_u32_e32 v5, vcc_lo, 0, v6, vcc_lo
	v_add_co_u32 v2, vcc_lo, v2, v7
	v_add_co_ci_u32_e32 v2, vcc_lo, v5, v8, vcc_lo
	v_add_co_ci_u32_e32 v5, vcc_lo, 0, v10, vcc_lo
	v_add_co_u32 v2, vcc_lo, v2, v9
	v_add_co_ci_u32_e32 v7, vcc_lo, 0, v5, vcc_lo
	v_mul_lo_u32 v8, s29, v2
	v_mad_u64_u32 v[5:6], null, s28, v2, 0
	v_mul_lo_u32 v9, s28, v7
	v_sub_co_u32 v5, vcc_lo, v3, v5
	v_add3_u32 v6, v6, v9, v8
	v_sub_nc_u32_e32 v8, v4, v6
	v_subrev_co_ci_u32_e64 v8, s0, s29, v8, vcc_lo
	v_add_co_u32 v9, s0, v2, 2
	v_add_co_ci_u32_e64 v10, s0, 0, v7, s0
	v_sub_co_u32 v11, s0, v5, s28
	v_sub_co_ci_u32_e32 v6, vcc_lo, v4, v6, vcc_lo
	v_subrev_co_ci_u32_e64 v8, s0, 0, v8, s0
	v_cmp_le_u32_e32 vcc_lo, s28, v11
	v_cmp_eq_u32_e64 s0, s29, v6
	v_cndmask_b32_e64 v11, 0, -1, vcc_lo
	v_cmp_le_u32_e32 vcc_lo, s29, v8
	v_cndmask_b32_e64 v13, 0, -1, vcc_lo
	v_cmp_le_u32_e32 vcc_lo, s28, v5
	;; [unrolled: 2-line block ×3, first 2 shown]
	v_cndmask_b32_e64 v16, 0, -1, vcc_lo
	v_cmp_eq_u32_e32 vcc_lo, s29, v8
	v_cndmask_b32_e64 v5, v16, v5, s0
	v_cndmask_b32_e32 v8, v13, v11, vcc_lo
	v_add_co_u32 v11, vcc_lo, v2, 1
	v_add_co_ci_u32_e32 v13, vcc_lo, 0, v7, vcc_lo
	v_cmp_ne_u32_e32 vcc_lo, 0, v8
	v_cndmask_b32_e32 v6, v13, v10, vcc_lo
	v_cndmask_b32_e32 v8, v11, v9, vcc_lo
	v_cmp_ne_u32_e32 vcc_lo, 0, v5
	v_cndmask_b32_e32 v23, v7, v6, vcc_lo
	v_cndmask_b32_e32 v22, v2, v8, vcc_lo
.LBB0_4:                                ;   in Loop: Header=BB0_2 Depth=1
	s_andn2_saveexec_b32 s0, s1
	s_cbranch_execz .LBB0_6
; %bb.5:                                ;   in Loop: Header=BB0_2 Depth=1
	v_cvt_f32_u32_e32 v2, s28
	s_sub_i32 s1, 0, s28
	v_mov_b32_e32 v23, v1
	v_rcp_iflag_f32_e32 v2, v2
	v_mul_f32_e32 v2, 0x4f7ffffe, v2
	v_cvt_u32_f32_e32 v2, v2
	v_mul_lo_u32 v5, s1, v2
	v_mul_hi_u32 v5, v2, v5
	v_add_nc_u32_e32 v2, v2, v5
	v_mul_hi_u32 v2, v3, v2
	v_mul_lo_u32 v5, v2, s28
	v_add_nc_u32_e32 v6, 1, v2
	v_sub_nc_u32_e32 v5, v3, v5
	v_subrev_nc_u32_e32 v7, s28, v5
	v_cmp_le_u32_e32 vcc_lo, s28, v5
	v_cndmask_b32_e32 v5, v5, v7, vcc_lo
	v_cndmask_b32_e32 v2, v2, v6, vcc_lo
	v_cmp_le_u32_e32 vcc_lo, s28, v5
	v_add_nc_u32_e32 v6, 1, v2
	v_cndmask_b32_e32 v22, v2, v6, vcc_lo
.LBB0_6:                                ;   in Loop: Header=BB0_2 Depth=1
	s_or_b32 exec_lo, exec_lo, s0
	v_mul_lo_u32 v2, v23, s28
	v_mul_lo_u32 v7, v22, s29
	s_load_dwordx2 s[0:1], s[22:23], 0x0
	v_mad_u64_u32 v[5:6], null, v22, s28, 0
	s_load_dwordx2 s[28:29], s[6:7], 0x0
	s_add_u32 s26, s26, 1
	s_addc_u32 s27, s27, 0
	s_add_u32 s6, s6, 8
	s_addc_u32 s7, s7, 0
	s_add_u32 s22, s22, 8
	v_add3_u32 v2, v6, v7, v2
	v_sub_co_u32 v3, vcc_lo, v3, v5
	s_addc_u32 s23, s23, 0
	s_add_u32 s24, s24, 8
	v_sub_co_ci_u32_e32 v2, vcc_lo, v4, v2, vcc_lo
	s_addc_u32 s25, s25, 0
	s_waitcnt lgkmcnt(0)
	v_mul_lo_u32 v4, s0, v2
	v_mul_lo_u32 v5, s1, v3
	v_mad_u64_u32 v[14:15], null, s0, v3, v[14:15]
	v_mul_lo_u32 v2, s28, v2
	v_mul_lo_u32 v6, s29, v3
	v_mad_u64_u32 v[20:21], null, s28, v3, v[20:21]
	v_cmp_ge_u64_e64 s0, s[26:27], s[14:15]
	v_add3_u32 v15, v5, v15, v4
	v_add3_u32 v21, v6, v21, v2
	s_and_b32 vcc_lo, exec_lo, s0
	s_cbranch_vccnz .LBB0_8
; %bb.7:                                ;   in Loop: Header=BB0_2 Depth=1
	v_mov_b32_e32 v3, v22
	v_mov_b32_e32 v4, v23
	s_branch .LBB0_2
.LBB0_8:
	s_load_dwordx2 s[0:1], s[4:5], 0x28
	s_lshl_b64 s[6:7], s[14:15], 3
	v_mul_hi_u32 v1, 0x3c3c3c4, v0
	s_add_u32 s4, s18, s6
	s_addc_u32 s5, s19, s7
	v_mov_b32_e32 v52, 0
	s_load_dwordx2 s[4:5], s[4:5], 0x0
                                        ; implicit-def: $vgpr7
                                        ; implicit-def: $vgpr5
                                        ; implicit-def: $vgpr3
                                        ; implicit-def: $vgpr19
                                        ; implicit-def: $vgpr17
                                        ; implicit-def: $vgpr11
                                        ; implicit-def: $vgpr9
                                        ; implicit-def: $vgpr33
                                        ; implicit-def: $vgpr29
                                        ; implicit-def: $vgpr25
                                        ; implicit-def: $vgpr31
                                        ; implicit-def: $vgpr35
                                        ; implicit-def: $vgpr37
                                        ; implicit-def: $vgpr39
                                        ; implicit-def: $vgpr41
                                        ; implicit-def: $vgpr27
	v_mul_u32_u24_e32 v2, 0x44, v1
	v_mov_b32_e32 v1, 0
	v_sub_nc_u32_e32 v53, v0, v2
	v_mov_b32_e32 v0, 0
	s_waitcnt lgkmcnt(0)
	v_cmp_gt_u64_e32 vcc_lo, s[0:1], v[22:23]
	s_and_saveexec_b32 s1, vcc_lo
	s_cbranch_execz .LBB0_12
; %bb.9:
	v_mov_b32_e32 v0, 0
	v_mov_b32_e32 v1, 0
	s_mov_b32 s14, exec_lo
                                        ; implicit-def: $vgpr26
                                        ; implicit-def: $vgpr40
                                        ; implicit-def: $vgpr38
                                        ; implicit-def: $vgpr36
                                        ; implicit-def: $vgpr34
                                        ; implicit-def: $vgpr30
                                        ; implicit-def: $vgpr24
                                        ; implicit-def: $vgpr28
                                        ; implicit-def: $vgpr32
                                        ; implicit-def: $vgpr8
                                        ; implicit-def: $vgpr10
                                        ; implicit-def: $vgpr16
                                        ; implicit-def: $vgpr18
                                        ; implicit-def: $vgpr2
                                        ; implicit-def: $vgpr4
                                        ; implicit-def: $vgpr6
	v_cmpx_gt_u32_e32 44, v53
	s_cbranch_execz .LBB0_11
; %bb.10:
	s_add_u32 s6, s16, s6
	s_addc_u32 s7, s17, s7
	v_add_nc_u32_e32 v16, 0x58, v53
	s_load_dwordx2 s[6:7], s[6:7], 0x0
	v_add_nc_u32_e32 v17, 0x84, v53
	v_mad_u64_u32 v[0:1], null, s20, v53, 0
	v_lshlrev_b64 v[2:3], 3, v[14:15]
	v_add_nc_u32_e32 v15, 44, v53
	v_mad_u64_u32 v[6:7], null, s20, v16, 0
	v_mad_u64_u32 v[8:9], null, s20, v17, 0
	;; [unrolled: 1-line block ×4, first 2 shown]
	v_mov_b32_e32 v1, v7
	v_add_nc_u32_e32 v18, 0xb0, v53
	v_mov_b32_e32 v7, v9
	v_add_nc_u32_e32 v26, 0x160, v53
	v_mad_u64_u32 v[14:15], null, s21, v15, v[5:6]
	s_waitcnt lgkmcnt(0)
	v_mul_lo_u32 v19, s7, v22
	v_mul_lo_u32 v24, s6, v23
	v_mad_u64_u32 v[10:11], null, s6, v22, 0
	v_mad_u64_u32 v[15:16], null, s21, v16, v[1:2]
	;; [unrolled: 1-line block ×3, first 2 shown]
	v_mov_b32_e32 v1, v13
	v_mov_b32_e32 v5, v14
	v_add3_u32 v11, v11, v24, v19
	v_add_nc_u32_e32 v19, 0xdc, v53
	v_mov_b32_e32 v7, v15
	v_lshlrev_b64 v[0:1], 3, v[0:1]
	v_lshlrev_b64 v[4:5], 3, v[4:5]
	;; [unrolled: 1-line block ×3, first 2 shown]
	v_mad_u64_u32 v[13:14], null, s20, v19, 0
	v_add_nc_u32_e32 v24, 0x134, v53
	v_add_nc_u32_e32 v32, 0x18c, v53
	;; [unrolled: 1-line block ×3, first 2 shown]
	v_add_co_u32 v9, s0, s8, v9
	v_add_co_ci_u32_e64 v10, s0, s9, v10, s0
	v_mad_u64_u32 v[30:31], null, s20, v33, 0
	v_add_co_u32 v45, s0, v9, v2
	v_add_co_ci_u32_e64 v46, s0, v10, v3, s0
	v_mad_u64_u32 v[10:11], null, s20, v18, 0
	v_mov_b32_e32 v9, v16
	v_lshlrev_b64 v[2:3], 3, v[6:7]
	v_mov_b32_e32 v7, v14
	v_add_co_u32 v0, s0, v45, v0
	v_lshlrev_b64 v[8:9], 3, v[8:9]
	v_mov_b32_e32 v6, v11
	v_add_co_ci_u32_e64 v1, s0, v46, v1, s0
	v_add_co_u32 v4, s0, v45, v4
	v_mad_u64_u32 v[14:15], null, s21, v18, v[6:7]
	v_mad_u64_u32 v[6:7], null, s21, v19, v[7:8]
	v_add_nc_u32_e32 v19, 0x108, v53
	v_add_co_ci_u32_e64 v5, s0, v46, v5, s0
	v_mad_u64_u32 v[17:18], null, s20, v24, 0
	v_mad_u64_u32 v[15:16], null, s20, v19, 0
	v_add_co_u32 v2, s0, v45, v2
	v_add_co_ci_u32_e64 v3, s0, v46, v3, s0
	v_mov_b32_e32 v11, v14
	v_add_co_u32 v8, s0, v45, v8
	v_add_co_ci_u32_e64 v9, s0, v46, v9, s0
	v_mov_b32_e32 v14, v6
	s_clause 0x3
	global_load_dwordx2 v[0:1], v[0:1], off
	global_load_dwordx2 v[6:7], v[4:5], off
	;; [unrolled: 1-line block ×4, first 2 shown]
	v_lshlrev_b64 v[8:9], 3, v[10:11]
	v_mov_b32_e32 v10, v16
	v_mov_b32_e32 v11, v18
	v_lshlrev_b64 v[13:14], 3, v[13:14]
	v_add_nc_u32_e32 v36, 0x210, v53
	v_add_nc_u32_e32 v40, 0x23c, v53
	v_add_co_u32 v8, s0, v45, v8
	v_mad_u64_u32 v[18:19], null, s21, v19, v[10:11]
	v_mad_u64_u32 v[10:11], null, s21, v24, v[11:12]
	;; [unrolled: 1-line block ×3, first 2 shown]
	v_add_co_ci_u32_e64 v9, s0, v46, v9, s0
	v_mov_b32_e32 v16, v18
	v_mad_u64_u32 v[34:35], null, s20, v36, 0
	v_mov_b32_e32 v18, v10
	v_add_co_u32 v10, s0, v45, v13
	v_add_co_ci_u32_e64 v11, s0, v46, v14, s0
	v_lshlrev_b64 v[14:15], 3, v[15:16]
	v_mov_b32_e32 v13, v25
	v_lshlrev_b64 v[16:17], 3, v[17:18]
	v_add_nc_u32_e32 v42, 0x268, v53
	v_add_nc_u32_e32 v47, 0x294, v53
	v_or_b32_e32 v48, 0x2c0, v53
	v_mad_u64_u32 v[18:19], null, s21, v26, v[13:14]
	v_mad_u64_u32 v[26:27], null, s20, v32, 0
	v_add_co_u32 v13, s0, v45, v14
	v_add_co_ci_u32_e64 v14, s0, v46, v15, s0
	v_add_co_u32 v28, s0, v45, v16
	v_mov_b32_e32 v15, v27
	v_add_co_ci_u32_e64 v29, s0, v46, v17, s0
	v_mov_b32_e32 v25, v18
	v_mad_u64_u32 v[15:16], null, s21, v32, v[15:16]
	s_clause 0x3
	global_load_dwordx2 v[18:19], v[8:9], off
	global_load_dwordx2 v[16:17], v[10:11], off
	;; [unrolled: 1-line block ×4, first 2 shown]
	v_add_nc_u32_e32 v32, 0x1e4, v53
	v_lshlrev_b64 v[13:14], 3, v[24:25]
	v_mov_b32_e32 v24, v31
	v_mad_u64_u32 v[28:29], null, s20, v32, 0
	v_mov_b32_e32 v27, v15
	v_mad_u64_u32 v[24:25], null, s21, v33, v[24:25]
	v_add_co_u32 v13, s0, v45, v13
	v_lshlrev_b64 v[25:26], 3, v[26:27]
	v_mov_b32_e32 v15, v29
	v_add_co_ci_u32_e64 v14, s0, v46, v14, s0
	v_mov_b32_e32 v31, v24
	v_add_co_u32 v24, s0, v45, v25
	v_add_co_ci_u32_e64 v25, s0, v46, v26, s0
	v_lshlrev_b64 v[26:27], 3, v[30:31]
	v_mad_u64_u32 v[30:31], null, s20, v40, 0
	v_add_co_u32 v26, s0, v45, v26
	v_add_co_ci_u32_e64 v27, s0, v46, v27, s0
	s_waitcnt vmcnt(2)
	v_mad_u64_u32 v[32:33], null, s21, v32, v[15:16]
	v_mov_b32_e32 v15, v35
	v_mov_b32_e32 v29, v32
	v_mad_u64_u32 v[32:33], null, s21, v36, v[15:16]
	v_mad_u64_u32 v[36:37], null, s20, v42, 0
	v_mov_b32_e32 v15, v31
	v_lshlrev_b64 v[28:29], 3, v[28:29]
	v_mov_b32_e32 v35, v32
	v_mad_u64_u32 v[31:32], null, s21, v40, v[15:16]
	v_mov_b32_e32 v15, v37
	v_mad_u64_u32 v[40:41], null, s20, v47, 0
	v_add_co_u32 v38, s0, v45, v28
	v_mad_u64_u32 v[42:43], null, s21, v42, v[15:16]
	v_add_co_ci_u32_e64 v39, s0, v46, v29, s0
	v_mad_u64_u32 v[43:44], null, s20, v48, 0
	s_clause 0x3
	global_load_dwordx2 v[32:33], v[13:14], off
	global_load_dwordx2 v[28:29], v[24:25], off
	;; [unrolled: 1-line block ×4, first 2 shown]
	v_lshlrev_b64 v[14:15], 3, v[34:35]
	v_mov_b32_e32 v13, v41
	v_mov_b32_e32 v37, v42
	v_lshlrev_b64 v[30:31], 3, v[30:31]
	v_mad_u64_u32 v[34:35], null, s21, v47, v[13:14]
	v_mov_b32_e32 v13, v44
	v_add_co_u32 v14, s0, v45, v14
	v_lshlrev_b64 v[35:36], 3, v[36:37]
	v_add_co_ci_u32_e64 v15, s0, v46, v15, s0
	v_mad_u64_u32 v[38:39], null, s21, v48, v[13:14]
	v_mov_b32_e32 v41, v34
	v_add_co_u32 v30, s0, v45, v30
	v_add_co_ci_u32_e64 v31, s0, v46, v31, s0
	v_lshlrev_b64 v[39:40], 3, v[40:41]
	v_mov_b32_e32 v44, v38
	v_add_co_u32 v34, s0, v45, v35
	v_add_co_ci_u32_e64 v35, s0, v46, v36, s0
	v_lshlrev_b64 v[36:37], 3, v[43:44]
	v_add_co_u32 v42, s0, v45, v39
	v_add_co_ci_u32_e64 v43, s0, v46, v40, s0
	v_add_co_u32 v44, s0, v45, v36
	v_add_co_ci_u32_e64 v45, s0, v46, v37, s0
	s_clause 0x4
	global_load_dwordx2 v[40:41], v[14:15], off
	global_load_dwordx2 v[38:39], v[30:31], off
	;; [unrolled: 1-line block ×5, first 2 shown]
.LBB0_11:
	s_or_b32 exec_lo, exec_lo, s14
	v_mov_b32_e32 v52, v53
.LBB0_12:
	s_or_b32 exec_lo, exec_lo, s1
	s_waitcnt vmcnt(0)
	v_add_f32_e32 v42, v6, v30
	v_sub_f32_e32 v44, v7, v31
	v_add_f32_e32 v43, v4, v34
	v_sub_f32_e32 v46, v5, v35
	v_add_f32_e32 v45, v2, v36
	v_mul_f32_e32 v61, 0xbf1a4643, v42
	v_mul_f32_e32 v67, 0xbf59a7d5, v42
	;; [unrolled: 1-line block ×3, first 2 shown]
	v_sub_f32_e32 v47, v3, v37
	v_add_f32_e32 v48, v18, v38
	v_fmamk_f32 v14, v44, 0xbf4c4adb, v61
	v_mul_f32_e32 v69, 0x3ee437d1, v43
	v_fmamk_f32 v15, v44, 0xbf06c442, v67
	v_fmamk_f32 v49, v46, 0x3f763a35, v62
	v_mul_f32_e32 v63, 0x3f6eb680, v45
	v_add_f32_e32 v14, v0, v14
	v_fmamk_f32 v50, v46, 0x3f65296c, v69
	v_add_f32_e32 v15, v0, v15
	v_mul_f32_e32 v70, 0x3dbcf732, v45
	v_fmamk_f32 v51, v47, 0xbeb8f4ab, v63
	v_add_f32_e32 v14, v14, v49
	v_sub_f32_e32 v49, v19, v39
	v_mul_f32_e32 v64, 0xbf59a7d5, v48
	v_add_f32_e32 v15, v15, v50
	v_add_f32_e32 v50, v16, v40
	;; [unrolled: 1-line block ×3, first 2 shown]
	v_fmamk_f32 v54, v47, 0xbf7ee86f, v70
	v_mul_f32_e32 v71, 0xbf1a4643, v48
	v_fmamk_f32 v55, v49, 0xbf06c442, v64
	v_mul_hi_u32 v13, 0xaaaaaaab, v12
	v_sub_f32_e32 v51, v17, v41
	v_mul_f32_e32 v65, 0x3dbcf732, v50
	v_add_f32_e32 v15, v15, v54
	v_fmamk_f32 v54, v49, 0x3f4c4adb, v71
	v_mul_f32_e32 v68, 0x3f6eb680, v50
	v_add_f32_e32 v14, v14, v55
	v_add_f32_e32 v55, v10, v26
	v_lshrrev_b32_e32 v13, 1, v13
	v_fmamk_f32 v57, v51, 0x3f7ee86f, v65
	v_add_f32_e32 v15, v15, v54
	v_fmamk_f32 v54, v51, 0xbeb8f4ab, v68
	v_sub_f32_e32 v56, v11, v27
	v_mul_f32_e32 v66, 0x3f3d2fb0, v55
	v_mul_f32_e32 v72, 0xbf7ba420, v55
	v_lshl_add_u32 v13, v13, 1, v13
	v_add_f32_e32 v14, v14, v57
	v_add_f32_e32 v15, v15, v54
	v_fmamk_f32 v54, v56, 0xbf2c7751, v66
	v_fmamk_f32 v57, v56, 0xbe3c28d5, v72
	v_mul_f32_e32 v59, 0xbf7ba420, v42
	v_sub_nc_u32_e32 v12, v12, v13
	v_mul_f32_e32 v74, 0xbf59a7d5, v45
	v_add_f32_e32 v13, v14, v54
	v_add_f32_e32 v14, v15, v57
	v_fmamk_f32 v15, v44, 0x3e3c28d5, v59
	v_mul_f32_e32 v54, 0x3f6eb680, v43
	v_fmac_f32_e32 v59, 0xbe3c28d5, v44
	v_add_f32_e32 v57, v8, v24
	v_sub_f32_e32 v58, v9, v25
	v_add_f32_e32 v15, v0, v15
	v_fmamk_f32 v60, v46, 0xbeb8f4ab, v54
	v_add_f32_e32 v59, v0, v59
	v_fmac_f32_e32 v54, 0x3eb8f4ab, v46
	v_mul_f32_e32 v73, 0xbf7ba420, v57
	v_mul_f32_e32 v75, 0x3f3d2fb0, v57
	v_add_f32_e32 v15, v15, v60
	v_mul_f32_e32 v60, 0x3f3d2fb0, v48
	v_add_f32_e32 v54, v59, v54
	v_fmamk_f32 v59, v47, 0x3f06c442, v74
	v_fmac_f32_e32 v74, 0xbf06c442, v47
	v_fmamk_f32 v76, v58, 0xbe3c28d5, v73
	v_fmamk_f32 v77, v58, 0x3f2c7751, v75
	v_mul_f32_e32 v79, 0xbe8c1d8e, v57
	v_add_f32_e32 v15, v15, v59
	v_add_f32_e32 v54, v54, v74
	v_fmamk_f32 v59, v49, 0xbf2c7751, v60
	v_fmac_f32_e32 v60, 0x3f2c7751, v49
	v_mul_f32_e32 v74, 0xbf1a4643, v50
	v_add_f32_e32 v13, v76, v13
	v_add_f32_e32 v14, v77, v14
	;; [unrolled: 1-line block ×4, first 2 shown]
	v_fmamk_f32 v76, v51, 0x3f4c4adb, v74
	v_fmac_f32_e32 v74, 0xbf4c4adb, v51
	v_mul_f32_e32 v77, 0x3ee437d1, v55
	v_add_f32_e32 v59, v32, v28
	v_sub_f32_e32 v60, v33, v29
	v_add_f32_e32 v15, v15, v76
	v_add_f32_e32 v54, v54, v74
	v_fmamk_f32 v78, v56, 0xbf65296c, v77
	v_fmac_f32_e32 v77, 0x3f65296c, v56
	v_mul_f32_e32 v74, 0x3ee437d1, v59
	v_mul_f32_e32 v76, 0xbe8c1d8e, v59
	v_cmp_gt_u32_e64 s1, 44, v53
	v_add_f32_e32 v15, v15, v78
	v_add_f32_e32 v54, v54, v77
	v_fmamk_f32 v77, v58, 0x3f763a35, v79
	v_fmac_f32_e32 v79, 0xbf763a35, v58
	v_mul_f32_e32 v78, 0x3dbcf732, v59
	v_fmamk_f32 v80, v60, 0x3f65296c, v74
	v_fmamk_f32 v81, v60, 0xbf763a35, v76
	v_add_f32_e32 v15, v77, v15
	v_add_f32_e32 v54, v79, v54
	v_fmamk_f32 v77, v60, 0xbf7ee86f, v78
	v_fmac_f32_e32 v78, 0x3f7ee86f, v60
	v_mul_u32_u24_e32 v79, 0x2ec, v12
	v_add_f32_e32 v13, v80, v13
	v_add_f32_e32 v12, v81, v14
	;; [unrolled: 1-line block ×4, first 2 shown]
	v_lshlrev_b32_e32 v54, 2, v79
	s_and_saveexec_b32 s0, s1
	s_cbranch_execz .LBB0_14
; %bb.13:
	v_mul_f32_e32 v77, 0xbf06c442, v44
	v_mul_f32_e32 v78, 0x3f65296c, v46
	;; [unrolled: 1-line block ×5, first 2 shown]
	v_sub_f32_e32 v67, v67, v77
	v_sub_f32_e32 v69, v69, v78
	;; [unrolled: 1-line block ×3, first 2 shown]
	v_mul_f32_e32 v82, 0xbeb8f4ab, v51
	v_sub_f32_e32 v71, v71, v81
	v_add_f32_e32 v67, v0, v67
	v_mul_f32_e32 v77, 0x3f763a35, v46
	v_mul_f32_e32 v83, 0xbe3c28d5, v56
	v_sub_f32_e32 v61, v61, v79
	v_sub_f32_e32 v68, v68, v82
	v_add_f32_e32 v67, v67, v69
	v_mul_f32_e32 v78, 0xbeb8f4ab, v47
	v_mul_f32_e32 v84, 0x3f2c7751, v58
	;; [unrolled: 1-line block ×3, first 2 shown]
	v_sub_f32_e32 v62, v62, v77
	v_add_f32_e32 v67, v67, v70
	v_add_f32_e32 v61, v0, v61
	v_sub_f32_e32 v72, v72, v83
	v_mul_f32_e32 v85, 0xbf06c442, v49
	v_sub_f32_e32 v63, v63, v78
	v_add_f32_e32 v67, v67, v71
	v_add_f32_e32 v61, v61, v62
	v_fmamk_f32 v62, v42, 0xbe8c1d8e, v81
	v_mul_f32_e32 v69, 0x3f7ee86f, v51
	v_mul_f32_e32 v71, 0xbf763a35, v60
	v_add_f32_e32 v67, v67, v68
	v_sub_f32_e32 v68, v75, v84
	v_sub_f32_e32 v64, v64, v85
	v_add_f32_e32 v61, v61, v63
	v_add_f32_e32 v62, v0, v62
	;; [unrolled: 1-line block ×3, first 2 shown]
	v_mul_f32_e32 v72, 0x3f06c442, v46
	v_mul_f32_e32 v80, 0xbf2c7751, v56
	v_add_f32_e32 v61, v61, v64
	v_sub_f32_e32 v64, v65, v69
	v_add_f32_e32 v63, v68, v67
	v_fmamk_f32 v67, v43, 0xbf59a7d5, v72
	v_mul_f32_e32 v68, 0x3f2c7751, v47
	v_sub_f32_e32 v65, v76, v71
	v_mul_f32_e32 v69, 0xbf65296c, v49
	v_add_f32_e32 v61, v61, v64
	v_add_f32_e32 v62, v62, v67
	v_fmamk_f32 v67, v45, 0x3f3d2fb0, v68
	v_sub_f32_e32 v64, v66, v80
	v_add_f32_e32 v63, v65, v63
	v_fmamk_f32 v65, v48, 0x3ee437d1, v69
	v_mul_f32_e32 v66, 0xbe3c28d5, v51
	v_add_f32_e32 v62, v62, v67
	v_mul_f32_e32 v86, 0xbe3c28d5, v58
	v_add_f32_e32 v61, v61, v64
	v_fma_f32 v64, 0xbe8c1d8e, v42, -v81
	v_mul_f32_e32 v71, 0x3f7ee86f, v56
	v_add_f32_e32 v62, v62, v65
	v_fmamk_f32 v65, v50, 0xbf7ba420, v66
	v_mul_f32_e32 v70, 0x3f65296c, v60
	v_sub_f32_e32 v67, v73, v86
	v_add_f32_e32 v64, v0, v64
	v_fma_f32 v72, 0xbf59a7d5, v43, -v72
	v_add_f32_e32 v62, v62, v65
	v_fmamk_f32 v65, v55, 0x3dbcf732, v71
	v_add_f32_e32 v61, v67, v61
	v_mul_f32_e32 v67, 0xbeb8f4ab, v58
	v_add_f32_e32 v64, v64, v72
	v_fma_f32 v68, 0x3f3d2fb0, v45, -v68
	v_sub_f32_e32 v70, v74, v70
	v_add_f32_e32 v62, v62, v65
	v_mul_f32_e32 v65, 0xbf7ee86f, v44
	v_fmamk_f32 v72, v57, 0x3f6eb680, v67
	v_add_f32_e32 v64, v64, v68
	v_fma_f32 v68, 0x3ee437d1, v48, -v69
	v_add_f32_e32 v61, v70, v61
	v_fmamk_f32 v69, v42, 0x3dbcf732, v65
	v_mul_f32_e32 v70, 0xbe3c28d5, v46
	v_add_f32_e32 v62, v72, v62
	v_add_f32_e32 v64, v64, v68
	v_fma_f32 v66, 0xbf7ba420, v50, -v66
	v_add_f32_e32 v68, v0, v69
	v_fmamk_f32 v69, v43, 0xbf7ba420, v70
	v_mul_f32_e32 v72, 0x3f763a35, v47
	v_mul_f32_e32 v73, 0xbf4c4adb, v60
	v_add_f32_e32 v64, v64, v66
	v_fma_f32 v66, 0x3dbcf732, v55, -v71
	v_add_f32_e32 v68, v68, v69
	v_fmamk_f32 v69, v45, 0xbe8c1d8e, v72
	v_mul_f32_e32 v71, 0x3eb8f4ab, v49
	v_fmamk_f32 v74, v59, 0xbf1a4643, v73
	v_add_f32_e32 v64, v64, v66
	v_fma_f32 v66, 0x3f6eb680, v57, -v67
	v_add_f32_e32 v67, v68, v69
	v_fmamk_f32 v68, v48, 0x3f6eb680, v71
	v_mul_f32_e32 v69, 0xbf65296c, v51
	v_fma_f32 v65, 0x3dbcf732, v42, -v65
	v_add_f32_e32 v64, v66, v64
	v_add_f32_e32 v62, v74, v62
	;; [unrolled: 1-line block ×3, first 2 shown]
	v_fmamk_f32 v67, v50, 0x3ee437d1, v69
	v_mul_f32_e32 v68, 0xbf06c442, v56
	v_add_f32_e32 v65, v0, v65
	v_fma_f32 v70, 0xbf7ba420, v43, -v70
	v_mul_f32_e32 v74, 0x3f4c4adb, v58
	v_add_f32_e32 v66, v66, v67
	v_fmamk_f32 v67, v55, 0xbf59a7d5, v68
	v_fma_f32 v73, 0xbf1a4643, v59, -v73
	v_add_f32_e32 v65, v65, v70
	v_fma_f32 v70, 0xbe8c1d8e, v45, -v72
	v_mul_f32_e32 v72, 0xbf65296c, v44
	v_add_f32_e32 v66, v66, v67
	v_fmamk_f32 v67, v57, 0xbf1a4643, v74
	v_add_f32_e32 v64, v73, v64
	v_add_f32_e32 v65, v65, v70
	v_fma_f32 v70, 0x3f6eb680, v48, -v71
	v_mul_f32_e32 v71, 0xbf4c4adb, v46
	v_add_f32_e32 v66, v67, v66
	v_fmamk_f32 v67, v42, 0x3ee437d1, v72
	v_fma_f32 v72, 0x3ee437d1, v42, -v72
	v_mul_f32_e32 v73, 0x3f2c7751, v60
	v_add_f32_e32 v65, v65, v70
	v_fma_f32 v69, 0x3ee437d1, v50, -v69
	v_add_f32_e32 v67, v0, v67
	v_fmamk_f32 v70, v43, 0xbf1a4643, v71
	v_mul_f32_e32 v76, 0x3e3c28d5, v47
	v_add_f32_e32 v72, v0, v72
	v_fma_f32 v71, 0xbf1a4643, v43, -v71
	v_fmamk_f32 v75, v59, 0x3f3d2fb0, v73
	v_add_f32_e32 v65, v65, v69
	v_add_f32_e32 v67, v67, v70
	v_fmamk_f32 v69, v45, 0xbf7ba420, v76
	v_mul_f32_e32 v70, 0x3f763a35, v49
	v_add_f32_e32 v71, v72, v71
	v_fma_f32 v72, 0xbf7ba420, v45, -v76
	v_add_f32_e32 v66, v75, v66
	v_fma_f32 v68, 0xbf59a7d5, v55, -v68
	v_add_f32_e32 v67, v67, v69
	v_fmamk_f32 v69, v48, 0xbe8c1d8e, v70
	v_mul_f32_e32 v75, 0x3f2c7751, v51
	v_add_f32_e32 v71, v71, v72
	v_fma_f32 v70, 0xbe8c1d8e, v48, -v70
	v_add_f32_e32 v65, v65, v68
	v_add_f32_e32 v67, v67, v69
	v_fmamk_f32 v68, v50, 0x3f3d2fb0, v75
	v_mul_f32_e32 v69, 0xbeb8f4ab, v56
	v_fma_f32 v72, 0xbf1a4643, v57, -v74
	v_add_f32_e32 v70, v71, v70
	v_fma_f32 v71, 0x3f3d2fb0, v50, -v75
	v_add_f32_e32 v67, v67, v68
	v_fmamk_f32 v68, v55, 0x3f6eb680, v69
	v_mul_f32_e32 v74, 0xbf7ee86f, v58
	v_add_f32_e32 v65, v72, v65
	v_fma_f32 v72, 0x3f3d2fb0, v59, -v73
	v_add_f32_e32 v70, v70, v71
	v_fma_f32 v69, 0x3f6eb680, v55, -v69
	v_mul_f32_e32 v71, 0xbf2c7751, v44
	v_add_f32_e32 v67, v67, v68
	v_fmamk_f32 v68, v57, 0x3dbcf732, v74
	v_add_f32_e32 v65, v72, v65
	v_add_f32_e32 v69, v70, v69
	v_fma_f32 v70, 0x3dbcf732, v57, -v74
	v_fmamk_f32 v72, v42, 0x3f3d2fb0, v71
	v_mul_f32_e32 v73, 0xbf7ee86f, v46
	v_fma_f32 v71, 0x3f3d2fb0, v42, -v71
	v_add_f32_e32 v67, v68, v67
	v_mul_f32_e32 v68, 0xbf06c442, v60
	v_add_f32_e32 v69, v70, v69
	v_add_f32_e32 v70, v0, v72
	v_fmamk_f32 v72, v43, 0x3dbcf732, v73
	v_mul_f32_e32 v75, 0xbf4c4adb, v47
	v_add_f32_e32 v71, v0, v71
	v_fma_f32 v73, 0x3dbcf732, v43, -v73
	v_fmamk_f32 v74, v59, 0xbf59a7d5, v68
	v_fma_f32 v68, 0xbf59a7d5, v59, -v68
	v_add_f32_e32 v70, v70, v72
	v_fmamk_f32 v72, v45, 0xbf1a4643, v75
	v_mul_f32_e32 v76, 0xbe3c28d5, v49
	v_add_f32_e32 v71, v71, v73
	v_fma_f32 v73, 0xbf1a4643, v45, -v75
	v_add_f32_e32 v68, v68, v69
	v_add_f32_e32 v69, v70, v72
	v_fmamk_f32 v70, v48, 0xbf7ba420, v76
	v_mul_f32_e32 v72, 0x3f06c442, v51
	v_add_f32_e32 v71, v71, v73
	v_add_f32_e32 v73, v0, v6
	v_fma_f32 v75, 0xbf7ba420, v48, -v76
	v_add_f32_e32 v69, v69, v70
	v_fmamk_f32 v70, v50, 0xbf59a7d5, v72
	v_mul_f32_e32 v76, 0x3f763a35, v56
	v_add_f32_e32 v73, v73, v4
	v_add_f32_e32 v71, v71, v75
	v_fma_f32 v72, 0xbf59a7d5, v50, -v72
	v_add_f32_e32 v69, v69, v70
	v_fmamk_f32 v70, v55, 0xbe8c1d8e, v76
	v_add_f32_e32 v73, v73, v2
	v_mul_f32_e32 v75, 0x3f65296c, v58
	v_add_f32_e32 v71, v71, v72
	v_fma_f32 v72, 0xbe8c1d8e, v55, -v76
	v_add_f32_e32 v69, v69, v70
	v_add_f32_e32 v70, v73, v18
	v_mul_f32_e32 v44, 0xbeb8f4ab, v44
	v_mul_f32_e32 v46, 0xbf2c7751, v46
	v_add_f32_e32 v71, v71, v72
	v_fma_f32 v72, 0x3ee437d1, v57, -v75
	v_add_f32_e32 v70, v70, v16
	v_mul_f32_e32 v47, 0xbf65296c, v47
	v_mul_f32_e32 v49, 0xbf7ee86f, v49
	;; [unrolled: 1-line block ×3, first 2 shown]
	v_add_f32_e32 v71, v72, v71
	v_add_f32_e32 v70, v70, v10
	v_fma_f32 v72, 0x3f6eb680, v42, -v44
	v_fmamk_f32 v42, v42, 0x3f6eb680, v44
	v_fmamk_f32 v73, v57, 0x3ee437d1, v75
	v_fma_f32 v75, 0x3f6eb680, v59, -v76
	v_add_f32_e32 v44, v70, v8
	v_add_f32_e32 v70, v0, v72
	;; [unrolled: 1-line block ×3, first 2 shown]
	v_fma_f32 v72, 0x3f3d2fb0, v43, -v46
	v_fmamk_f32 v43, v43, 0x3f3d2fb0, v46
	v_add_f32_e32 v42, v44, v32
	v_fma_f32 v46, 0x3ee437d1, v45, -v47
	v_add_f32_e32 v69, v73, v69
	v_add_f32_e32 v44, v70, v72
	;; [unrolled: 1-line block ×4, first 2 shown]
	v_fmamk_f32 v43, v45, 0x3ee437d1, v47
	v_fma_f32 v45, 0x3dbcf732, v48, -v49
	v_add_f32_e32 v44, v44, v46
	v_mul_f32_e32 v46, 0xbf763a35, v51
	v_add_f32_e32 v42, v42, v24
	v_add_f32_e32 v0, v0, v43
	v_fmamk_f32 v43, v48, 0x3dbcf732, v49
	v_add_f32_e32 v44, v44, v45
	v_fma_f32 v45, 0xbe8c1d8e, v50, -v46
	v_add_f32_e32 v42, v42, v26
	v_mul_f32_e32 v47, 0xbf4c4adb, v56
	v_add_f32_e32 v0, v0, v43
	v_fmamk_f32 v43, v50, 0xbe8c1d8e, v46
	v_add_f32_e32 v44, v44, v45
	v_add_f32_e32 v42, v40, v42
	v_fma_f32 v45, 0xbf1a4643, v55, -v47
	v_mul_f32_e32 v46, 0xbf06c442, v58
	v_add_f32_e32 v0, v0, v43
	v_fmamk_f32 v43, v55, 0xbf1a4643, v47
	v_add_f32_e32 v42, v38, v42
	v_add_f32_e32 v44, v44, v45
	v_fma_f32 v45, 0xbf59a7d5, v57, -v46
	v_mul_f32_e32 v47, 0xbe3c28d5, v60
	v_add_f32_e32 v0, v0, v43
	v_add_f32_e32 v42, v36, v42
	v_fmamk_f32 v43, v57, 0xbf59a7d5, v46
	v_add_f32_e32 v44, v45, v44
	v_fma_f32 v45, 0xbf7ba420, v59, -v47
	v_mul_u32_u24_e32 v46, 0x44, v53
	v_add_f32_e32 v42, v34, v42
	v_fmamk_f32 v73, v59, 0x3f6eb680, v76
	v_add_f32_e32 v0, v43, v0
	v_fmamk_f32 v43, v59, 0xbf7ba420, v47
	v_add_f32_e32 v44, v45, v44
	v_add_f32_e32 v42, v30, v42
	v_add3_u32 v45, 0, v46, v54
	v_add_f32_e32 v46, v75, v71
	v_add_f32_e32 v47, v74, v67
	;; [unrolled: 1-line block ×4, first 2 shown]
	ds_write2_b32 v45, v42, v44 offset1:1
	ds_write2_b32 v45, v46, v68 offset0:2 offset1:3
	ds_write2_b32 v45, v65, v64 offset0:4 offset1:5
	;; [unrolled: 1-line block ×7, first 2 shown]
	ds_write_b32 v45, v0 offset:64
.LBB0_14:
	s_or_b32 exec_lo, exec_lo, s0
	v_lshlrev_b32_e32 v42, 2, v53
	s_waitcnt lgkmcnt(0)
	s_barrier
	buffer_gl0_inv
	v_cmp_gt_u32_e64 s0, 51, v53
	v_add_nc_u32_e32 v0, 0, v42
	v_add3_u32 v56, 0, v54, v42
	v_add_nc_u32_e32 v55, v0, v54
	v_add_nc_u32_e32 v48, 0x200, v55
	;; [unrolled: 1-line block ×3, first 2 shown]
	ds_read2_b32 v[46:47], v55 offset0:68 offset1:187
	ds_read2_b32 v[44:45], v48 offset0:127 offset1:246
	;; [unrolled: 1-line block ×3, first 2 shown]
	ds_read_b32 v57, v56
	ds_read_b32 v58, v55 offset:2516
	s_and_saveexec_b32 s6, s0
	s_cbranch_execz .LBB0_16
; %bb.15:
	v_add_nc_u32_e32 v12, 0x700, v55
	ds_read2_b32 v[14:15], v48 offset0:8 offset1:195
	ds_read2_b32 v[12:13], v12 offset0:62 offset1:249
.LBB0_16:
	s_or_b32 exec_lo, exec_lo, s6
	v_sub_f32_e32 v76, v6, v30
	v_add_f32_e32 v72, v7, v31
	v_sub_f32_e32 v75, v4, v34
	v_add_f32_e32 v69, v5, v35
	v_sub_f32_e32 v65, v2, v36
	v_mul_f32_e32 v73, 0xbf4c4adb, v76
	v_mul_f32_e32 v74, 0xbf06c442, v76
	;; [unrolled: 1-line block ×5, first 2 shown]
	v_fma_f32 v4, 0xbf1a4643, v72, -v73
	v_fma_f32 v6, 0xbf59a7d5, v72, -v74
	;; [unrolled: 1-line block ×3, first 2 shown]
	v_fmamk_f32 v30, v72, 0xbf7ba420, v2
	v_fma_f32 v2, 0xbf7ba420, v72, -v2
	v_add_f32_e32 v4, v1, v4
	v_mul_f32_e32 v36, 0x3eb8f4ab, v75
	v_add_f32_e32 v6, v1, v6
	v_add_f32_e32 v68, v3, v37
	v_mul_f32_e32 v66, 0xbeb8f4ab, v65
	v_add_f32_e32 v4, v4, v34
	v_fma_f32 v34, 0x3ee437d1, v69, -v71
	v_add_f32_e32 v30, v1, v30
	v_add_f32_e32 v2, v1, v2
	v_fmamk_f32 v48, v69, 0x3f6eb680, v36
	v_mul_f32_e32 v67, 0xbf7ee86f, v65
	v_fma_f32 v36, 0x3f6eb680, v69, -v36
	v_add_f32_e32 v6, v6, v34
	v_fma_f32 v34, 0x3f6eb680, v68, -v66
	v_sub_f32_e32 v64, v18, v38
	v_mul_f32_e32 v18, 0xbf06c442, v65
	v_add_f32_e32 v30, v30, v48
	v_fma_f32 v48, 0x3dbcf732, v68, -v67
	v_add_f32_e32 v2, v2, v36
	v_add_f32_e32 v4, v4, v34
	;; [unrolled: 1-line block ×3, first 2 shown]
	v_mul_f32_e32 v61, 0xbf06c442, v64
	v_fmamk_f32 v34, v68, 0xbf59a7d5, v18
	v_mul_f32_e32 v36, 0x3f2c7751, v64
	v_add_f32_e32 v6, v6, v48
	v_mul_f32_e32 v62, 0x3f4c4adb, v64
	v_fma_f32 v18, 0xbf59a7d5, v68, -v18
	v_fma_f32 v38, 0xbf59a7d5, v63, -v61
	v_add_f32_e32 v30, v30, v34
	v_fmamk_f32 v48, v63, 0x3f3d2fb0, v36
	v_sub_f32_e32 v60, v16, v40
	v_fma_f32 v34, 0xbf1a4643, v63, -v62
	v_add_f32_e32 v2, v2, v18
	v_add_f32_e32 v4, v4, v38
	;; [unrolled: 1-line block ×3, first 2 shown]
	v_fma_f32 v18, 0x3f3d2fb0, v63, -v36
	v_add_f32_e32 v59, v17, v41
	v_mul_f32_e32 v38, 0x3f7ee86f, v60
	v_mul_f32_e32 v30, 0xbf4c4adb, v60
	v_sub_f32_e32 v36, v10, v26
	v_add_f32_e32 v6, v6, v34
	v_mul_f32_e32 v40, 0xbeb8f4ab, v60
	v_fma_f32 v10, 0x3dbcf732, v59, -v38
	v_fmamk_f32 v48, v59, 0xbf1a4643, v30
	v_add_f32_e32 v34, v11, v27
	v_mul_f32_e32 v26, 0xbf2c7751, v36
	v_add_f32_e32 v2, v2, v18
	v_fma_f32 v18, 0x3f6eb680, v59, -v40
	v_add_f32_e32 v4, v4, v10
	v_fma_f32 v10, 0xbf1a4643, v59, -v30
	;; [unrolled: 2-line block ×3, first 2 shown]
	v_mul_f32_e32 v30, 0xbe3c28d5, v36
	v_sub_f32_e32 v24, v8, v24
	v_mul_f32_e32 v8, 0x3f65296c, v36
	v_add_f32_e32 v6, v6, v18
	v_add_f32_e32 v2, v2, v10
	;; [unrolled: 1-line block ×3, first 2 shown]
	v_fma_f32 v49, 0xbf7ba420, v34, -v30
	v_add_f32_e32 v18, v9, v25
	v_mul_f32_e32 v10, 0xbe3c28d5, v24
	v_fmamk_f32 v50, v34, 0x3ee437d1, v8
	v_mul_f32_e32 v16, 0x3f2c7751, v24
	v_fma_f32 v8, 0x3ee437d1, v34, -v8
	v_add_f32_e32 v6, v6, v49
	v_fma_f32 v49, 0xbf7ba420, v18, -v10
	v_add_f32_e32 v48, v48, v50
	v_fma_f32 v50, 0x3f3d2fb0, v18, -v16
	v_mul_f32_e32 v51, 0xbf763a35, v24
	v_add_f32_e32 v77, v2, v8
	v_sub_f32_e32 v8, v32, v28
	v_add_f32_e32 v49, v49, v4
	v_add_f32_e32 v28, v50, v6
	v_fmamk_f32 v32, v18, 0xbe8c1d8e, v51
	v_fma_f32 v50, 0xbe8c1d8e, v18, -v51
	v_add_f32_e32 v2, v33, v29
	v_mul_f32_e32 v4, 0x3f65296c, v8
	v_mul_f32_e32 v6, 0xbf763a35, v8
	;; [unrolled: 1-line block ×3, first 2 shown]
	v_add_f32_e32 v32, v32, v48
	v_add_f32_e32 v77, v50, v77
	v_fma_f32 v48, 0x3ee437d1, v2, -v4
	v_fma_f32 v50, 0xbe8c1d8e, v2, -v6
	v_fmamk_f32 v78, v2, 0x3dbcf732, v51
	v_fma_f32 v79, 0x3dbcf732, v2, -v51
	s_waitcnt lgkmcnt(0)
	v_add_f32_e32 v51, v48, v49
	v_add_f32_e32 v50, v50, v28
	;; [unrolled: 1-line block ×4, first 2 shown]
	s_barrier
	buffer_gl0_inv
	s_and_saveexec_b32 s6, s1
	s_cbranch_execz .LBB0_18
; %bb.17:
	v_add_f32_e32 v7, v1, v7
	v_mul_f32_e32 v90, 0xbf7ee86f, v76
	v_mul_f32_e32 v88, 0xbf2c7751, v76
	v_mul_f32_e32 v89, 0xbf65296c, v76
	v_mul_f32_e32 v91, 0xbf7ee86f, v75
	v_add_f32_e32 v5, v7, v5
	v_mul_f32_e32 v92, 0xbf4c4adb, v75
	v_mul_f32_e32 v28, 0xbf1a4643, v72
	;; [unrolled: 1-line block ×4, first 2 shown]
	v_add_f32_e32 v3, v5, v3
	v_mul_f32_e32 v78, 0x3ee437d1, v69
	v_fmamk_f32 v94, v72, 0x3ee437d1, v89
	v_fma_f32 v89, 0x3ee437d1, v72, -v89
	v_mul_f32_e32 v7, 0x3f6eb680, v68
	v_add_f32_e32 v3, v3, v19
	v_mul_f32_e32 v79, 0x3dbcf732, v68
	v_mul_f32_e32 v80, 0xbf59a7d5, v63
	v_add_f32_e32 v89, v1, v89
	v_add_f32_e32 v7, v7, v66
	;; [unrolled: 1-line block ×3, first 2 shown]
	v_mul_f32_e32 v17, 0xbeb8f4ab, v76
	v_mul_f32_e32 v81, 0xbf1a4643, v63
	;; [unrolled: 1-line block ×4, first 2 shown]
	v_add_f32_e32 v3, v3, v11
	v_mul_f32_e32 v11, 0xbf763a35, v76
	v_mul_f32_e32 v76, 0xbf2c7751, v75
	v_fmamk_f32 v93, v72, 0x3f6eb680, v17
	v_fma_f32 v17, 0x3f6eb680, v72, -v17
	v_add_f32_e32 v3, v3, v9
	v_mul_f32_e32 v9, 0xbe3c28d5, v75
	v_mul_f32_e32 v75, 0x3f06c442, v75
	v_fmamk_f32 v95, v72, 0xbe8c1d8e, v11
	v_fma_f32 v11, 0xbe8c1d8e, v72, -v11
	v_add_f32_e32 v3, v3, v33
	v_fmamk_f32 v33, v72, 0x3f3d2fb0, v88
	v_fma_f32 v88, 0x3f3d2fb0, v72, -v88
	v_add_f32_e32 v17, v1, v17
	v_add_f32_e32 v11, v1, v11
	;; [unrolled: 1-line block ×3, first 2 shown]
	v_fmamk_f32 v29, v72, 0x3dbcf732, v90
	v_fma_f32 v90, 0x3dbcf732, v72, -v90
	v_fma_f32 v72, 0x3f3d2fb0, v69, -v76
	v_add_f32_e32 v33, v1, v33
	v_add_f32_e32 v3, v3, v25
	;; [unrolled: 1-line block ×5, first 2 shown]
	v_fmamk_f32 v32, v69, 0x3f3d2fb0, v76
	v_add_f32_e32 v3, v3, v27
	v_fmamk_f32 v27, v69, 0x3dbcf732, v91
	v_fma_f32 v73, 0x3dbcf732, v69, -v91
	v_fmamk_f32 v74, v69, 0xbf1a4643, v92
	v_fma_f32 v76, 0xbf1a4643, v69, -v92
	v_add_f32_e32 v3, v41, v3
	v_add_f32_e32 v41, v1, v93
	;; [unrolled: 1-line block ×16, first 2 shown]
	v_fmamk_f32 v35, v69, 0xbf59a7d5, v75
	v_add_f32_e32 v32, v88, v73
	v_add_f32_e32 v33, v39, v74
	;; [unrolled: 1-line block ×4, first 2 shown]
	v_fmamk_f32 v31, v69, 0xbf7ba420, v9
	v_add_f32_e32 v35, v37, v35
	v_mul_f32_e32 v37, 0xbf65296c, v65
	v_fma_f32 v9, 0xbf7ba420, v69, -v9
	v_add_f32_e32 v39, v89, v76
	v_add_f32_e32 v29, v29, v31
	v_fma_f32 v31, 0xbf59a7d5, v69, -v75
	v_add_f32_e32 v69, v78, v71
	v_fmamk_f32 v70, v68, 0x3ee437d1, v37
	v_fma_f32 v37, 0x3ee437d1, v68, -v37
	v_add_f32_e32 v9, v90, v9
	v_add_f32_e32 v11, v11, v31
	v_mul_f32_e32 v31, 0xbf4c4adb, v65
	v_add_f32_e32 v1, v1, v69
	v_mul_f32_e32 v69, 0x3e3c28d5, v65
	;; [unrolled: 2-line block ×3, first 2 shown]
	v_fmamk_f32 v41, v68, 0xbf1a4643, v31
	v_fma_f32 v31, 0xbf1a4643, v68, -v31
	v_add_f32_e32 v7, v25, v7
	v_mul_f32_e32 v83, 0x3f3d2fb0, v34
	v_mul_f32_e32 v84, 0xbf7ba420, v34
	v_add_f32_e32 v27, v27, v41
	v_add_f32_e32 v31, v32, v31
	v_fmamk_f32 v32, v68, 0xbf7ba420, v69
	v_mul_f32_e32 v41, 0x3f2c7751, v65
	v_fma_f32 v65, 0xbf7ba420, v68, -v69
	v_fmamk_f32 v69, v68, 0xbe8c1d8e, v37
	v_fma_f32 v37, 0xbe8c1d8e, v68, -v37
	v_add_f32_e32 v32, v33, v32
	v_fmamk_f32 v33, v68, 0x3f3d2fb0, v41
	v_add_f32_e32 v39, v39, v65
	v_add_f32_e32 v28, v28, v70
	;; [unrolled: 1-line block ×3, first 2 shown]
	v_fma_f32 v37, 0x3f3d2fb0, v68, -v41
	v_add_f32_e32 v33, v35, v33
	v_mul_f32_e32 v35, 0xbf7ee86f, v64
	v_add_f32_e32 v41, v79, v67
	v_add_f32_e32 v26, v83, v26
	;; [unrolled: 1-line block ×3, first 2 shown]
	v_mul_f32_e32 v37, 0xbe3c28d5, v64
	v_fmamk_f32 v65, v63, 0x3dbcf732, v35
	v_add_f32_e32 v1, v1, v41
	v_fma_f32 v25, 0x3dbcf732, v63, -v35
	v_mul_f32_e32 v41, 0x3f763a35, v64
	v_fmamk_f32 v35, v63, 0xbf7ba420, v37
	v_fma_f32 v37, 0xbf7ba420, v63, -v37
	v_add_f32_e32 v30, v84, v30
	v_add_f32_e32 v17, v17, v25
	;; [unrolled: 1-line block ×4, first 2 shown]
	v_mul_f32_e32 v27, 0x3eb8f4ab, v64
	v_add_f32_e32 v31, v31, v37
	v_fmamk_f32 v35, v63, 0xbe8c1d8e, v41
	v_mul_f32_e32 v37, 0xbf65296c, v64
	v_fma_f32 v41, 0xbe8c1d8e, v63, -v41
	v_fmamk_f32 v64, v63, 0x3f6eb680, v27
	v_fma_f32 v27, 0x3f6eb680, v63, -v27
	v_add_f32_e32 v32, v32, v35
	v_fmamk_f32 v35, v63, 0x3ee437d1, v37
	v_add_f32_e32 v39, v39, v41
	v_add_f32_e32 v41, v81, v62
	;; [unrolled: 1-line block ×3, first 2 shown]
	v_fma_f32 v27, 0x3ee437d1, v63, -v37
	v_add_f32_e32 v33, v33, v35
	v_mul_f32_e32 v35, 0xbf763a35, v60
	v_add_f32_e32 v37, v80, v61
	v_add_f32_e32 v1, v1, v41
	;; [unrolled: 1-line block ×3, first 2 shown]
	v_mul_f32_e32 v27, 0x3f06c442, v60
	v_fmamk_f32 v61, v59, 0xbe8c1d8e, v35
	v_fma_f32 v35, 0xbe8c1d8e, v59, -v35
	v_add_f32_e32 v7, v7, v37
	v_mul_f32_e32 v41, 0x3f2c7751, v60
	v_fmamk_f32 v37, v59, 0xbf59a7d5, v27
	v_fma_f32 v27, 0xbf59a7d5, v59, -v27
	v_add_f32_e32 v17, v17, v35
	v_mul_f32_e32 v35, 0xbf65296c, v60
	v_add_f32_e32 v5, v7, v5
	v_add_f32_e32 v25, v25, v37
	;; [unrolled: 1-line block ×3, first 2 shown]
	v_fmamk_f32 v31, v59, 0x3f3d2fb0, v41
	v_mul_f32_e32 v37, 0xbe3c28d5, v60
	v_fmamk_f32 v60, v59, 0x3ee437d1, v35
	v_fma_f32 v35, 0x3ee437d1, v59, -v35
	v_add_f32_e32 v5, v5, v26
	v_add_f32_e32 v31, v32, v31
	v_fmamk_f32 v32, v59, 0xbf7ba420, v37
	v_mul_f32_e32 v19, 0xbf7ba420, v18
	v_add_f32_e32 v9, v9, v35
	v_fma_f32 v35, 0xbf7ba420, v59, -v37
	v_add_f32_e32 v37, v82, v40
	v_add_f32_e32 v32, v33, v32
	v_mul_f32_e32 v33, 0xbf4c4adb, v36
	v_add_f32_e32 v28, v28, v61
	v_add_f32_e32 v11, v11, v35
	v_mul_f32_e32 v35, 0x3f763a35, v36
	v_add_f32_e32 v1, v1, v37
	v_fmamk_f32 v38, v34, 0xbf1a4643, v33
	v_fma_f32 v7, 0xbf1a4643, v34, -v33
	v_mul_f32_e32 v37, 0xbeb8f4ab, v36
	v_fmamk_f32 v33, v34, 0xbe8c1d8e, v35
	v_fma_f32 v35, 0xbe8c1d8e, v34, -v35
	v_add_f32_e32 v1, v1, v30
	v_add_f32_e32 v7, v17, v7
	v_mul_f32_e32 v85, 0x3f3d2fb0, v18
	v_add_f32_e32 v17, v25, v33
	v_mul_f32_e32 v25, 0xbf06c442, v36
	v_add_f32_e32 v27, v27, v35
	v_fmamk_f32 v33, v34, 0x3f6eb680, v37
	v_mul_f32_e32 v35, 0x3f7ee86f, v36
	v_fma_f32 v36, 0x3f6eb680, v34, -v37
	v_fmamk_f32 v37, v34, 0xbf59a7d5, v25
	v_fma_f32 v25, 0xbf59a7d5, v34, -v25
	v_add_f32_e32 v31, v31, v33
	v_fmamk_f32 v33, v34, 0x3dbcf732, v35
	v_add_f32_e32 v28, v28, v38
	v_add_f32_e32 v10, v19, v10
	;; [unrolled: 1-line block ×3, first 2 shown]
	v_fma_f32 v25, 0x3dbcf732, v34, -v35
	v_add_f32_e32 v32, v32, v33
	v_mul_f32_e32 v33, 0xbf06c442, v24
	v_add_f32_e32 v29, v29, v69
	v_add_f32_e32 v16, v85, v16
	;; [unrolled: 1-line block ×3, first 2 shown]
	v_mul_f32_e32 v25, 0x3f65296c, v24
	v_fmamk_f32 v34, v18, 0xbf59a7d5, v33
	v_fma_f32 v26, 0xbf59a7d5, v18, -v33
	v_mul_f32_e32 v33, 0xbf7ee86f, v24
	v_mul_f32_e32 v19, 0x3eb8f4ab, v8
	v_fmamk_f32 v30, v18, 0x3ee437d1, v25
	v_fma_f32 v25, 0x3ee437d1, v18, -v25
	v_add_f32_e32 v7, v26, v7
	v_mul_f32_e32 v26, 0x3f4c4adb, v24
	v_mul_f32_e32 v24, 0xbeb8f4ab, v24
	v_add_f32_e32 v17, v30, v17
	v_add_f32_e32 v25, v25, v27
	v_fmamk_f32 v27, v18, 0x3dbcf732, v33
	v_fma_f32 v30, 0x3dbcf732, v18, -v33
	v_fmamk_f32 v33, v18, 0xbf1a4643, v26
	v_fma_f32 v26, 0xbf1a4643, v18, -v26
	v_add_f32_e32 v28, v34, v28
	v_add_f32_e32 v27, v27, v31
	v_fmamk_f32 v31, v18, 0x3f6eb680, v24
	v_fma_f32 v18, 0x3f6eb680, v18, -v24
	v_mul_f32_e32 v24, 0xbe3c28d5, v8
	v_add_f32_e32 v5, v10, v5
	v_add_f32_e32 v29, v29, v64
	v_fma_f32 v41, 0x3f3d2fb0, v59, -v41
	v_add_f32_e32 v11, v18, v11
	v_fmamk_f32 v18, v2, 0xbf7ba420, v24
	v_fma_f32 v10, 0xbf7ba420, v2, -v24
	v_add_f32_e32 v1, v16, v1
	v_add_f32_e32 v29, v29, v60
	v_mul_f32_e32 v24, 0xbf06c442, v8
	v_add_f32_e32 v16, v18, v28
	v_fmamk_f32 v18, v2, 0x3f6eb680, v19
	v_fma_f32 v19, 0x3f6eb680, v2, -v19
	v_add_f32_e32 v7, v10, v7
	v_mul_f32_e32 v10, 0x3f2c7751, v8
	v_add_f32_e32 v39, v39, v41
	v_add_f32_e32 v9, v26, v9
	;; [unrolled: 1-line block ×4, first 2 shown]
	v_fmamk_f32 v25, v2, 0x3f3d2fb0, v10
	v_fma_f32 v10, 0x3f3d2fb0, v2, -v10
	v_add_f32_e32 v17, v18, v17
	v_fmamk_f32 v18, v2, 0xbf59a7d5, v24
	v_mul_f32_e32 v8, 0xbf4c4adb, v8
	v_mul_f32_e32 v86, 0x3ee437d1, v2
	v_mul_f32_e32 v87, 0xbe8c1d8e, v2
	v_add_f32_e32 v36, v39, v36
	v_add_f32_e32 v9, v10, v9
	v_lshlrev_b32_e32 v10, 6, v53
	v_add_f32_e32 v29, v33, v29
	v_add_f32_e32 v26, v31, v32
	;; [unrolled: 1-line block ×3, first 2 shown]
	v_fmamk_f32 v27, v2, 0xbf1a4643, v8
	v_add_f32_e32 v4, v86, v4
	v_add_f32_e32 v6, v87, v6
	v_add_f32_e32 v30, v30, v36
	v_fma_f32 v24, 0xbf59a7d5, v2, -v24
	v_fma_f32 v2, 0xbf1a4643, v2, -v8
	v_add3_u32 v0, v0, v10, v54
	v_add_f32_e32 v25, v25, v29
	v_add_f32_e32 v8, v27, v26
	;; [unrolled: 1-line block ×6, first 2 shown]
	ds_write2_b32 v0, v3, v16 offset1:1
	ds_write2_b32 v0, v17, v18 offset0:2 offset1:3
	ds_write2_b32 v0, v25, v8 offset0:4 offset1:5
	;; [unrolled: 1-line block ×7, first 2 shown]
	ds_write_b32 v0, v7 offset:64
.LBB0_18:
	s_or_b32 exec_lo, exec_lo, s6
	v_add_nc_u32_e32 v0, 0x200, v55
	v_add_nc_u32_e32 v1, 0x600, v55
	s_waitcnt lgkmcnt(0)
	s_barrier
	buffer_gl0_inv
	ds_read2_b32 v[16:17], v55 offset0:68 offset1:187
	ds_read2_b32 v[18:19], v0 offset0:127 offset1:246
	;; [unrolled: 1-line block ×3, first 2 shown]
	ds_read_b32 v26, v56
	ds_read_b32 v27, v55 offset:2516
	s_and_saveexec_b32 s1, s0
	s_cbranch_execz .LBB0_20
; %bb.19:
	v_add_nc_u32_e32 v1, 0x700, v55
	ds_read2_b32 v[48:49], v0 offset0:8 offset1:195
	ds_read2_b32 v[50:51], v1 offset0:62 offset1:249
.LBB0_20:
	s_or_b32 exec_lo, exec_lo, s1
	v_and_b32_e32 v0, 0xff, v53
	v_add_nc_u16 v1, v53, 0x44
	v_add_nc_u16 v2, v53, 0x88
	v_mov_b32_e32 v8, 3
	v_mul_lo_u16 v0, 0xf1, v0
	v_and_b32_e32 v3, 0xff, v1
	v_lshrrev_b16 v28, 12, v0
	v_and_b32_e32 v0, 0xff, v2
	v_mul_lo_u16 v3, 0xf1, v3
	v_mul_lo_u16 v4, v28, 17
	;; [unrolled: 1-line block ×3, first 2 shown]
	v_lshrrev_b16 v29, 12, v3
	v_sub_nc_u16 v35, v53, v4
	v_lshrrev_b16 v36, 12, v0
	v_mul_lo_u16 v0, v29, 17
	v_and_b32_e32 v29, 0xffff, v29
	v_mul_u32_u24_sdwa v3, v35, v8 dst_sel:DWORD dst_unused:UNUSED_PAD src0_sel:BYTE_0 src1_sel:DWORD
	v_mul_lo_u16 v4, v36, 17
	v_sub_nc_u16 v37, v1, v0
	v_mad_u32_u24 v29, 0x110, v29, 0
	v_lshlrev_b32_e32 v0, 3, v3
	v_sub_nc_u16 v34, v2, v4
	v_mul_u32_u24_sdwa v1, v37, v8 dst_sel:DWORD dst_unused:UNUSED_PAD src0_sel:BYTE_0 src1_sel:DWORD
	s_clause 0x1
	global_load_dwordx4 v[4:7], v0, s[12:13]
	global_load_dwordx2 v[30:31], v0, s[12:13] offset:16
	v_mul_u32_u24_sdwa v0, v34, v8 dst_sel:DWORD dst_unused:UNUSED_PAD src0_sel:BYTE_0 src1_sel:DWORD
	v_lshlrev_b32_e32 v1, 3, v1
	v_lshlrev_b32_e32 v38, 3, v0
	s_clause 0x3
	global_load_dwordx4 v[8:11], v1, s[12:13]
	global_load_dwordx2 v[32:33], v1, s[12:13] offset:16
	global_load_dwordx4 v[0:3], v38, s[12:13]
	global_load_dwordx2 v[39:40], v38, s[12:13] offset:16
	v_and_b32_e32 v38, 0xffff, v28
	v_mov_b32_e32 v28, 2
	s_waitcnt vmcnt(0) lgkmcnt(0)
	s_barrier
	buffer_gl0_inv
	v_mad_u32_u24 v38, 0x110, v38, 0
	v_lshlrev_b32_sdwa v41, v28, v35 dst_sel:DWORD dst_unused:UNUSED_PAD src0_sel:DWORD src1_sel:BYTE_0
	v_lshlrev_b32_sdwa v37, v28, v37 dst_sel:DWORD dst_unused:UNUSED_PAD src0_sel:DWORD src1_sel:BYTE_0
	v_and_b32_e32 v35, 0xffff, v36
	v_add3_u32 v38, v38, v41, v54
	v_add3_u32 v37, v29, v37, v54
	v_mul_f32_e32 v36, v17, v5
	v_mul_f32_e32 v29, v47, v5
	;; [unrolled: 1-line block ×5, first 2 shown]
	v_fma_f32 v36, v47, v4, -v36
	v_fmac_f32_e32 v29, v17, v4
	v_fma_f32 v17, v43, v30, -v41
	v_fmac_f32_e32 v31, v25, v30
	v_mul_f32_e32 v25, v18, v9
	v_mul_f32_e32 v4, v44, v9
	v_mul_f32_e32 v9, v24, v11
	v_mul_f32_e32 v30, v27, v33
	v_mul_f32_e32 v33, v58, v33
	v_fma_f32 v5, v45, v6, -v5
	v_mul_f32_e32 v41, v49, v1
	v_mul_f32_e32 v1, v15, v1
	v_fma_f32 v25, v44, v8, -v25
	v_fma_f32 v9, v42, v10, -v9
	;; [unrolled: 1-line block ×3, first 2 shown]
	v_fmac_f32_e32 v4, v18, v8
	v_fmac_f32_e32 v33, v27, v32
	v_fma_f32 v18, v15, v0, -v41
	v_fmac_f32_e32 v1, v49, v0
	v_sub_f32_e32 v0, v57, v5
	v_sub_f32_e32 v8, v36, v17
	;; [unrolled: 1-line block ×4, first 2 shown]
	v_mul_f32_e32 v43, v51, v40
	v_mul_f32_e32 v40, v13, v40
	v_sub_f32_e32 v17, v29, v31
	v_sub_f32_e32 v15, v4, v33
	v_fma_f32 v27, v57, 2.0, -v0
	v_fma_f32 v30, v36, 2.0, -v8
	;; [unrolled: 1-line block ×4, first 2 shown]
	v_fma_f32 v13, v13, v39, -v43
	v_sub_f32_e32 v32, v0, v17
	v_sub_f32_e32 v33, v5, v15
	v_fmac_f32_e32 v40, v51, v39
	v_sub_f32_e32 v30, v27, v30
	v_sub_f32_e32 v25, v31, v25
	v_fma_f32 v36, v0, 2.0, -v32
	v_fma_f32 v39, v5, 2.0, -v33
	v_sub_f32_e32 v0, v18, v13
	v_sub_f32_e32 v5, v1, v40
	v_fma_f32 v27, v27, 2.0, -v30
	v_fma_f32 v31, v31, 2.0, -v25
	ds_write2_b32 v38, v30, v32 offset0:34 offset1:51
	ds_write2_b32 v38, v27, v36 offset1:17
	ds_write2_b32 v37, v31, v39 offset1:17
	ds_write2_b32 v37, v25, v33 offset0:34 offset1:51
	s_and_saveexec_b32 s1, s0
	s_cbranch_execz .LBB0_22
; %bb.21:
	v_mul_f32_e32 v13, v50, v3
	v_fma_f32 v18, v18, 2.0, -v0
	v_mad_u32_u24 v25, 0x110, v35, 0
	v_lshlrev_b32_sdwa v27, v28, v34 dst_sel:DWORD dst_unused:UNUSED_PAD src0_sel:DWORD src1_sel:BYTE_0
	v_fma_f32 v13, v12, v2, -v13
	v_add3_u32 v25, v25, v27, v54
	v_sub_f32_e32 v13, v14, v13
	v_fma_f32 v14, v14, 2.0, -v13
	v_sub_f32_e32 v28, v13, v5
	v_sub_f32_e32 v18, v14, v18
	v_fma_f32 v13, v13, 2.0, -v28
	v_fma_f32 v14, v14, 2.0, -v18
	ds_write2_b32 v25, v14, v13 offset1:17
	ds_write2_b32 v25, v18, v28 offset0:34 offset1:51
.LBB0_22:
	s_or_b32 exec_lo, exec_lo, s1
	v_mul_f32_e32 v7, v45, v7
	v_mul_f32_e32 v11, v42, v11
	v_add_nc_u32_e32 v14, 0x600, v55
	v_add_nc_u32_e32 v18, 0x800, v55
	v_fma_f32 v13, v29, 2.0, -v17
	v_fmac_f32_e32 v7, v19, v6
	v_fmac_f32_e32 v11, v24, v10
	v_add_nc_u32_e32 v10, 0x200, v55
	s_waitcnt lgkmcnt(0)
	s_barrier
	v_sub_f32_e32 v6, v26, v7
	v_sub_f32_e32 v7, v16, v11
	v_add_nc_u32_e32 v11, 0x400, v55
	buffer_gl0_inv
	ds_read_b32 v36, v56
	v_fma_f32 v17, v26, 2.0, -v6
	ds_read2_b32 v[30:31], v55 offset0:68 offset1:136
	ds_read2_b32 v[26:27], v10 offset0:76 offset1:144
	;; [unrolled: 1-line block ×5, first 2 shown]
	v_fma_f32 v16, v16, 2.0, -v7
	v_fma_f32 v4, v4, 2.0, -v15
	v_add_f32_e32 v8, v6, v8
	v_sub_f32_e32 v10, v17, v13
	v_add_f32_e32 v9, v7, v9
	s_waitcnt lgkmcnt(0)
	v_sub_f32_e32 v4, v16, v4
	v_fma_f32 v6, v6, 2.0, -v8
	v_fma_f32 v11, v17, 2.0, -v10
	v_fma_f32 v7, v7, 2.0, -v9
	s_barrier
	v_fma_f32 v13, v16, 2.0, -v4
	buffer_gl0_inv
	ds_write2_b32 v38, v11, v6 offset1:17
	ds_write2_b32 v38, v10, v8 offset0:34 offset1:51
	ds_write2_b32 v37, v13, v7 offset1:17
	ds_write2_b32 v37, v4, v9 offset0:34 offset1:51
	s_and_saveexec_b32 s1, s0
	s_cbranch_execz .LBB0_24
; %bb.23:
	v_mul_f32_e32 v3, v12, v3
	v_fma_f32 v1, v1, 2.0, -v5
	v_mad_u32_u24 v5, 0x110, v35, 0
	v_fmac_f32_e32 v3, v50, v2
	v_sub_f32_e32 v2, v48, v3
	v_mov_b32_e32 v3, 2
	v_fma_f32 v4, v48, 2.0, -v2
	v_lshlrev_b32_sdwa v3, v3, v34 dst_sel:DWORD dst_unused:UNUSED_PAD src0_sel:DWORD src1_sel:BYTE_0
	v_add_f32_e32 v0, v2, v0
	v_sub_f32_e32 v1, v4, v1
	v_add3_u32 v3, v5, v3, v54
	v_fma_f32 v2, v2, 2.0, -v0
	v_fma_f32 v4, v4, 2.0, -v1
	ds_write2_b32 v3, v4, v2 offset1:17
	ds_write2_b32 v3, v1, v0 offset0:34 offset1:51
.LBB0_24:
	s_or_b32 exec_lo, exec_lo, s1
	s_waitcnt lgkmcnt(0)
	s_barrier
	buffer_gl0_inv
	s_and_saveexec_b32 s0, vcc_lo
	s_cbranch_execz .LBB0_26
; %bb.25:
	v_mul_u32_u24_e32 v0, 10, v53
	v_add_nc_u32_e32 v57, 0x44, v52
	v_mul_lo_u32 v37, s5, v22
	v_mul_lo_u32 v38, s4, v23
	v_mad_u64_u32 v[22:23], null, s4, v22, 0
	v_lshlrev_b32_e32 v0, 3, v0
	v_mad_u64_u32 v[40:41], null, s2, v52, 0
	v_mad_u64_u32 v[42:43], null, s2, v57, 0
	s_clause 0x4
	global_load_dwordx4 v[4:7], v0, s[12:13] offset:472
	global_load_dwordx4 v[16:19], v0, s[12:13] offset:408
	;; [unrolled: 1-line block ×5, first 2 shown]
	v_add_nc_u32_e32 v44, 0x800, v55
	ds_read2_b32 v[34:35], v55 offset0:68 offset1:136
	ds_read_b32 v39, v56
	v_add_nc_u32_e32 v46, 0x600, v55
	v_add_nc_u32_e32 v58, 0x88, v52
	v_add3_u32 v23, v23, v38, v37
	v_mad_u64_u32 v[37:38], null, s3, v52, v[41:42]
	v_add_nc_u32_e32 v50, 0x200, v55
	v_add_nc_u32_e32 v53, 0x400, v55
	ds_read2_b32 v[44:45], v44 offset0:100 offset1:168
	ds_read2_b32 v[46:47], v46 offset0:92 offset1:160
	v_mad_u64_u32 v[48:49], null, s2, v58, 0
	v_lshlrev_b64 v[22:23], 3, v[22:23]
	ds_read2_b32 v[50:51], v50 offset0:76 offset1:144
	ds_read2_b32 v[53:54], v53 offset0:84 offset1:152
	v_lshlrev_b64 v[20:21], 3, v[20:21]
	v_mov_b32_e32 v41, v37
	v_mov_b32_e32 v38, v43
	v_add_nc_u32_e32 v59, 0xcc, v52
	v_add_co_u32 v37, vcc_lo, s10, v22
	v_mov_b32_e32 v43, v49
	v_add_co_ci_u32_e32 v49, vcc_lo, s11, v23, vcc_lo
	v_lshlrev_b64 v[22:23], 3, v[40:41]
	v_add_co_u32 v37, vcc_lo, v37, v20
	v_add_co_ci_u32_e32 v40, vcc_lo, v49, v21, vcc_lo
	s_waitcnt lgkmcnt(4)
	v_mad_u64_u32 v[20:21], null, s3, v57, v[38:39]
	v_add_co_u32 v21, vcc_lo, v37, v22
	v_add_co_ci_u32_e32 v22, vcc_lo, v40, v23, vcc_lo
	v_add_nc_u32_e32 v60, 0x110, v52
	v_mad_u64_u32 v[55:56], null, s2, v59, 0
	s_waitcnt vmcnt(4)
	v_mul_f32_e32 v23, v33, v7
	s_waitcnt vmcnt(3)
	v_mul_f32_e32 v38, v30, v17
	v_mul_f32_e32 v17, v34, v17
	s_waitcnt lgkmcnt(3)
	v_mul_f32_e32 v7, v45, v7
	v_mul_f32_e32 v41, v32, v5
	;; [unrolled: 1-line block ×3, first 2 shown]
	s_waitcnt vmcnt(2)
	v_mul_f32_e32 v57, v29, v11
	s_waitcnt vmcnt(1)
	v_mul_f32_e32 v61, v26, v13
	v_mul_f32_e32 v62, v28, v9
	;; [unrolled: 1-line block ×3, first 2 shown]
	s_waitcnt vmcnt(0)
	v_mul_f32_e32 v64, v25, v3
	v_mul_f32_e32 v65, v24, v1
	;; [unrolled: 1-line block ×4, first 2 shown]
	s_waitcnt lgkmcnt(1)
	v_mul_f32_e32 v13, v50, v13
	v_mul_f32_e32 v11, v47, v11
	;; [unrolled: 1-line block ×4, first 2 shown]
	s_waitcnt lgkmcnt(0)
	v_mul_f32_e32 v1, v53, v1
	v_mul_f32_e32 v3, v54, v3
	v_fmac_f32_e32 v23, v45, v6
	v_fmac_f32_e32 v38, v34, v16
	v_fma_f32 v16, v30, v16, -v17
	v_fma_f32 v30, v33, v6, -v7
	v_fmac_f32_e32 v41, v44, v4
	v_fmac_f32_e32 v49, v35, v18
	;; [unrolled: 1-line block ×8, first 2 shown]
	v_fma_f32 v6, v31, v18, -v19
	v_fma_f32 v17, v32, v4, -v5
	v_fma_f32 v4, v26, v12, -v13
	v_fma_f32 v12, v29, v10, -v11
	v_fma_f32 v5, v27, v14, -v15
	v_fma_f32 v7, v28, v8, -v9
	v_fma_f32 v0, v24, v0, -v1
	v_fma_f32 v1, v25, v2, -v3
	v_add_f32_e32 v2, v23, v38
	v_sub_f32_e32 v3, v16, v30
	v_add_f32_e32 v8, v41, v49
	v_add_f32_e32 v10, v57, v61
	;; [unrolled: 1-line block ×5, first 2 shown]
	v_sub_f32_e32 v24, v38, v23
	v_add_f32_e32 v29, v39, v38
	v_add_f32_e32 v16, v36, v16
	v_sub_f32_e32 v9, v6, v17
	v_sub_f32_e32 v11, v4, v12
	;; [unrolled: 1-line block ×4, first 2 shown]
	v_add_f32_e32 v25, v17, v6
	v_sub_f32_e32 v26, v49, v41
	v_mul_f32_e32 v35, 0x3f575c64, v2
	v_mul_f32_e32 v38, 0x3ed4b147, v8
	;; [unrolled: 1-line block ×30, first 2 shown]
	v_add_f32_e32 v29, v29, v49
	v_add_f32_e32 v6, v16, v6
	;; [unrolled: 1-line block ×3, first 2 shown]
	v_sub_f32_e32 v28, v61, v57
	v_mul_f32_e32 v50, 0xbf68dda4, v26
	v_mul_f32_e32 v70, 0xbf4178ce, v26
	v_mul_f32_e32 v78, 0x3e903f40, v26
	v_mul_f32_e32 v86, 0x3f7d64f0, v26
	v_mul_f32_e32 v26, 0x3f0a6770, v26
	v_fmamk_f32 v94, v3, 0x3f0a6770, v35
	v_fmamk_f32 v95, v9, 0x3f68dda4, v38
	;; [unrolled: 1-line block ×25, first 2 shown]
	v_fmac_f32_e32 v2, 0xbe903f40, v3
	v_fmac_f32_e32 v80, 0xbf4178ce, v3
	v_fmac_f32_e32 v72, 0xbf7d64f0, v3
	v_fmac_f32_e32 v53, 0xbf68dda4, v3
	v_fmac_f32_e32 v35, 0xbf0a6770, v3
	v_fmamk_f32 v3, v9, 0xbf0a6770, v8
	v_fmac_f32_e32 v8, 0x3f0a6770, v9
	v_fmac_f32_e32 v81, 0x3f7d64f0, v9
	v_fmac_f32_e32 v73, 0x3e903f40, v9
	v_fmac_f32_e32 v54, 0xbf4178ce, v9
	v_fmac_f32_e32 v38, 0xbf68dda4, v9
	v_fmamk_f32 v9, v11, 0x3f4178ce, v10
	;; [unrolled: 6-line block ×5, first 2 shown]
	v_fma_f32 v24, 0xbf75a155, v19, -v24
	v_fma_f32 v85, 0xbf27a4f4, v19, -v85
	;; [unrolled: 1-line block ×5, first 2 shown]
	v_add_f32_e32 v29, v29, v61
	v_add_f32_e32 v4, v6, v4
	v_sub_f32_e32 v31, v63, v62
	v_mul_f32_e32 v51, 0xbf7d64f0, v28
	v_mul_f32_e32 v71, 0x3e903f40, v28
	;; [unrolled: 1-line block ×5, first 2 shown]
	v_fmamk_f32 v100, v25, 0x3ed4b147, v50
	v_fmamk_f32 v107, v25, 0xbf27a4f4, v70
	;; [unrolled: 1-line block ×5, first 2 shown]
	v_fma_f32 v26, 0x3f575c64, v25, -v26
	v_fma_f32 v86, 0xbe11bafb, v25, -v86
	;; [unrolled: 1-line block ×5, first 2 shown]
	v_add_f32_e32 v35, v39, v35
	v_add_f32_e32 v19, v36, v19
	;; [unrolled: 1-line block ×4, first 2 shown]
	v_sub_f32_e32 v33, v65, v64
	v_add_f32_e32 v32, v7, v5
	v_add_f32_e32 v34, v1, v0
	v_mul_f32_e32 v16, 0xbf4178ce, v31
	v_fmamk_f32 v115, v27, 0x3ed4b147, v79
	v_fmamk_f32 v123, v27, 0x3f575c64, v87
	;; [unrolled: 1-line block ×3, first 2 shown]
	v_fma_f32 v28, 0xbf27a4f4, v27, -v28
	v_fma_f32 v87, 0x3f575c64, v27, -v87
	;; [unrolled: 1-line block ×3, first 2 shown]
	v_fmamk_f32 v125, v27, 0xbf75a155, v71
	v_fma_f32 v71, 0xbf75a155, v27, -v71
	v_fmamk_f32 v126, v27, 0xbe11bafb, v51
	v_fma_f32 v27, 0xbe11bafb, v27, -v51
	v_add_f32_e32 v61, v39, v101
	v_add_f32_e32 v101, v39, v124
	;; [unrolled: 1-line block ×10, first 2 shown]
	v_mul_f32_e32 v49, 0x3f7d64f0, v31
	v_mul_f32_e32 v88, 0xbf0a6770, v31
	;; [unrolled: 1-line block ×9, first 2 shown]
	v_fmamk_f32 v130, v32, 0xbf27a4f4, v16
	v_fma_f32 v16, 0xbf27a4f4, v32, -v16
	v_add_f32_e32 v80, v39, v80
	v_add_f32_e32 v72, v39, v72
	;; [unrolled: 1-line block ×12, first 2 shown]
	v_fmamk_f32 v51, v32, 0x3ed4b147, v31
	v_fma_f32 v31, 0x3ed4b147, v32, -v31
	v_fmamk_f32 v127, v32, 0xbf75a155, v89
	v_fma_f32 v89, 0xbf75a155, v32, -v89
	;; [unrolled: 2-line block ×9, first 2 shown]
	v_add_f32_e32 v6, v39, v94
	v_add_f32_e32 v90, v39, v108
	;; [unrolled: 1-line block ×58, first 2 shown]
	v_mad_u64_u32 v[25:26], null, s3, v58, v[43:44]
	v_mov_b32_e32 v43, v20
	v_add_f32_e32 v53, v53, v54
	v_add_f32_e32 v63, v106, v114
	;; [unrolled: 1-line block ×5, first 2 shown]
	v_mad_u64_u32 v[26:27], null, s2, v60, 0
	global_store_dwordx2 v[21:22], v[23:24], off
	v_lshlrev_b64 v[21:22], 3, v[42:43]
	v_add_f32_e32 v8, v8, v28
	v_add_f32_e32 v28, v53, v66
	v_mov_b32_e32 v20, v56
	v_add_f32_e32 v38, v63, v115
	v_add_f32_e32 v47, v54, v71
	v_add_f32_e32 v6, v29, v129
	v_add_f32_e32 v28, v28, v67
	v_mad_u64_u32 v[23:24], null, s3, v59, v[20:21]
	v_mov_b32_e32 v20, v27
	v_add_co_u32 v21, vcc_lo, v37, v21
	v_add_f32_e32 v29, v38, v128
	v_add_f32_e32 v47, v47, v49
	v_mov_b32_e32 v49, v25
	v_add_nc_u32_e32 v30, 0x154, v52
	v_add_f32_e32 v17, v28, v68
	v_mad_u64_u32 v[27:28], null, s3, v60, v[20:21]
	v_add_f32_e32 v0, v4, v134
	v_add_f32_e32 v4, v29, v132
	v_lshlrev_b64 v[24:25], 3, v[48:49]
	v_mad_u64_u32 v[28:29], null, s2, v30, 0
	v_add_f32_e32 v19, v35, v46
	v_add_f32_e32 v18, v45, v34
	v_add_co_ci_u32_e32 v22, vcc_lo, v40, v22, vcc_lo
	v_mov_b32_e32 v56, v23
	v_add_co_u32 v23, vcc_lo, v37, v24
	global_store_dwordx2 v[21:22], v[18:19], off
	v_add_f32_e32 v16, v47, v91
	v_lshlrev_b64 v[19:20], 3, v[55:56]
	v_add_co_ci_u32_e32 v24, vcc_lo, v40, v25, vcc_lo
	v_mov_b32_e32 v18, v29
	v_add_f32_e32 v13, v44, v84
	v_add_f32_e32 v31, v8, v31
	global_store_dwordx2 v[23:24], v[16:17], off
	v_lshlrev_b64 v[16:17], 3, v[26:27]
	v_mad_u64_u32 v[21:22], null, s3, v30, v[18:19]
	v_add_co_u32 v18, vcc_lo, v37, v19
	v_add_co_ci_u32_e32 v19, vcc_lo, v40, v20, vcc_lo
	v_add_nc_u32_e32 v22, 0x198, v52
	v_add_co_u32 v16, vcc_lo, v37, v16
	v_add_co_ci_u32_e32 v17, vcc_lo, v40, v17, vcc_lo
	v_mov_b32_e32 v29, v21
	v_mad_u64_u32 v[20:21], null, s2, v22, 0
	global_store_dwordx2 v[18:19], v[14:15], off
	v_add_nc_u32_e32 v19, 0x1dc, v52
	v_add_nc_u32_e32 v24, 0x220, v52
	global_store_dwordx2 v[16:17], v[12:13], off
	v_lshlrev_b64 v[12:13], 3, v[28:29]
	v_add_nc_u32_e32 v26, 0x264, v52
	v_mad_u64_u32 v[14:15], null, s2, v19, 0
	v_mad_u64_u32 v[17:18], null, s2, v24, 0
	v_mov_b32_e32 v16, v21
	v_add_co_u32 v12, vcc_lo, v37, v12
	v_add_nc_u32_e32 v27, 0x2a8, v52
	v_add_f32_e32 v10, v31, v33
	v_add_co_ci_u32_e32 v13, vcc_lo, v40, v13, vcc_lo
	v_mad_u64_u32 v[21:22], null, s3, v22, v[16:17]
	v_mad_u64_u32 v[15:16], null, s3, v19, v[15:16]
	v_mov_b32_e32 v16, v18
	v_mad_u64_u32 v[22:23], null, s2, v26, 0
	global_store_dwordx2 v[12:13], v[10:11], off
	v_lshlrev_b64 v[11:12], 3, v[20:21]
	v_mad_u64_u32 v[18:19], null, s3, v24, v[16:17]
	v_mad_u64_u32 v[24:25], null, s2, v27, 0
	v_mov_b32_e32 v10, v23
	v_lshlrev_b64 v[13:14], 3, v[14:15]
	v_add_f32_e32 v94, v108, v122
	v_add_f32_e32 v8, v39, v32
	;; [unrolled: 1-line block ×3, first 2 shown]
	v_mad_u64_u32 v[19:20], null, s3, v26, v[10:11]
	v_mov_b32_e32 v10, v25
	v_add_co_u32 v11, vcc_lo, v37, v11
	v_add_f32_e32 v61, v94, v123
	v_add_co_ci_u32_e32 v12, vcc_lo, v40, v12, vcc_lo
	v_mad_u64_u32 v[15:16], null, s3, v27, v[10:11]
	v_mov_b32_e32 v23, v19
	v_lshlrev_b64 v[16:17], 3, v[17:18]
	v_add_co_u32 v13, vcc_lo, v37, v13
	v_add_co_ci_u32_e32 v14, vcc_lo, v40, v14, vcc_lo
	v_mov_b32_e32 v25, v15
	v_lshlrev_b64 v[18:19], 3, v[22:23]
	v_add_f32_e32 v38, v61, v127
	v_add_co_u32 v15, vcc_lo, v37, v16
	v_lshlrev_b64 v[20:21], 3, v[24:25]
	v_add_co_ci_u32_e32 v16, vcc_lo, v40, v17, vcc_lo
	v_add_co_u32 v17, vcc_lo, v37, v18
	v_add_f32_e32 v7, v36, v120
	v_add_f32_e32 v6, v38, v131
	v_add_co_ci_u32_e32 v18, vcc_lo, v40, v19, vcc_lo
	v_add_co_u32 v19, vcc_lo, v37, v20
	v_add_f32_e32 v1, v1, v98
	v_add_co_ci_u32_e32 v20, vcc_lo, v40, v21, vcc_lo
	global_store_dwordx2 v[11:12], v[8:9], off
	global_store_dwordx2 v[13:14], v[6:7], off
	;; [unrolled: 1-line block ×5, first 2 shown]
.LBB0_26:
	s_endpgm
	.section	.rodata,"a",@progbits
	.p2align	6, 0x0
	.amdhsa_kernel fft_rtc_fwd_len748_factors_17_4_11_wgs_204_tpt_68_halfLds_sp_op_CI_CI_sbrr_dirReg
		.amdhsa_group_segment_fixed_size 0
		.amdhsa_private_segment_fixed_size 0
		.amdhsa_kernarg_size 104
		.amdhsa_user_sgpr_count 6
		.amdhsa_user_sgpr_private_segment_buffer 1
		.amdhsa_user_sgpr_dispatch_ptr 0
		.amdhsa_user_sgpr_queue_ptr 0
		.amdhsa_user_sgpr_kernarg_segment_ptr 1
		.amdhsa_user_sgpr_dispatch_id 0
		.amdhsa_user_sgpr_flat_scratch_init 0
		.amdhsa_user_sgpr_private_segment_size 0
		.amdhsa_wavefront_size32 1
		.amdhsa_uses_dynamic_stack 0
		.amdhsa_system_sgpr_private_segment_wavefront_offset 0
		.amdhsa_system_sgpr_workgroup_id_x 1
		.amdhsa_system_sgpr_workgroup_id_y 0
		.amdhsa_system_sgpr_workgroup_id_z 0
		.amdhsa_system_sgpr_workgroup_info 0
		.amdhsa_system_vgpr_workitem_id 0
		.amdhsa_next_free_vgpr 135
		.amdhsa_next_free_sgpr 31
		.amdhsa_reserve_vcc 1
		.amdhsa_reserve_flat_scratch 0
		.amdhsa_float_round_mode_32 0
		.amdhsa_float_round_mode_16_64 0
		.amdhsa_float_denorm_mode_32 3
		.amdhsa_float_denorm_mode_16_64 3
		.amdhsa_dx10_clamp 1
		.amdhsa_ieee_mode 1
		.amdhsa_fp16_overflow 0
		.amdhsa_workgroup_processor_mode 1
		.amdhsa_memory_ordered 1
		.amdhsa_forward_progress 0
		.amdhsa_shared_vgpr_count 0
		.amdhsa_exception_fp_ieee_invalid_op 0
		.amdhsa_exception_fp_denorm_src 0
		.amdhsa_exception_fp_ieee_div_zero 0
		.amdhsa_exception_fp_ieee_overflow 0
		.amdhsa_exception_fp_ieee_underflow 0
		.amdhsa_exception_fp_ieee_inexact 0
		.amdhsa_exception_int_div_zero 0
	.end_amdhsa_kernel
	.text
.Lfunc_end0:
	.size	fft_rtc_fwd_len748_factors_17_4_11_wgs_204_tpt_68_halfLds_sp_op_CI_CI_sbrr_dirReg, .Lfunc_end0-fft_rtc_fwd_len748_factors_17_4_11_wgs_204_tpt_68_halfLds_sp_op_CI_CI_sbrr_dirReg
                                        ; -- End function
	.section	.AMDGPU.csdata,"",@progbits
; Kernel info:
; codeLenInByte = 11908
; NumSgprs: 33
; NumVgprs: 135
; ScratchSize: 0
; MemoryBound: 0
; FloatMode: 240
; IeeeMode: 1
; LDSByteSize: 0 bytes/workgroup (compile time only)
; SGPRBlocks: 4
; VGPRBlocks: 16
; NumSGPRsForWavesPerEU: 33
; NumVGPRsForWavesPerEU: 135
; Occupancy: 7
; WaveLimiterHint : 1
; COMPUTE_PGM_RSRC2:SCRATCH_EN: 0
; COMPUTE_PGM_RSRC2:USER_SGPR: 6
; COMPUTE_PGM_RSRC2:TRAP_HANDLER: 0
; COMPUTE_PGM_RSRC2:TGID_X_EN: 1
; COMPUTE_PGM_RSRC2:TGID_Y_EN: 0
; COMPUTE_PGM_RSRC2:TGID_Z_EN: 0
; COMPUTE_PGM_RSRC2:TIDIG_COMP_CNT: 0
	.text
	.p2alignl 6, 3214868480
	.fill 48, 4, 3214868480
	.type	__hip_cuid_812943ea6460680f,@object ; @__hip_cuid_812943ea6460680f
	.section	.bss,"aw",@nobits
	.globl	__hip_cuid_812943ea6460680f
__hip_cuid_812943ea6460680f:
	.byte	0                               ; 0x0
	.size	__hip_cuid_812943ea6460680f, 1

	.ident	"AMD clang version 19.0.0git (https://github.com/RadeonOpenCompute/llvm-project roc-6.4.0 25133 c7fe45cf4b819c5991fe208aaa96edf142730f1d)"
	.section	".note.GNU-stack","",@progbits
	.addrsig
	.addrsig_sym __hip_cuid_812943ea6460680f
	.amdgpu_metadata
---
amdhsa.kernels:
  - .args:
      - .actual_access:  read_only
        .address_space:  global
        .offset:         0
        .size:           8
        .value_kind:     global_buffer
      - .offset:         8
        .size:           8
        .value_kind:     by_value
      - .actual_access:  read_only
        .address_space:  global
        .offset:         16
        .size:           8
        .value_kind:     global_buffer
      - .actual_access:  read_only
        .address_space:  global
        .offset:         24
        .size:           8
        .value_kind:     global_buffer
      - .actual_access:  read_only
        .address_space:  global
        .offset:         32
        .size:           8
        .value_kind:     global_buffer
      - .offset:         40
        .size:           8
        .value_kind:     by_value
      - .actual_access:  read_only
        .address_space:  global
        .offset:         48
        .size:           8
        .value_kind:     global_buffer
      - .actual_access:  read_only
        .address_space:  global
        .offset:         56
        .size:           8
        .value_kind:     global_buffer
      - .offset:         64
        .size:           4
        .value_kind:     by_value
      - .actual_access:  read_only
        .address_space:  global
        .offset:         72
        .size:           8
        .value_kind:     global_buffer
      - .actual_access:  read_only
        .address_space:  global
        .offset:         80
        .size:           8
        .value_kind:     global_buffer
      - .actual_access:  read_only
        .address_space:  global
        .offset:         88
        .size:           8
        .value_kind:     global_buffer
      - .actual_access:  write_only
        .address_space:  global
        .offset:         96
        .size:           8
        .value_kind:     global_buffer
    .group_segment_fixed_size: 0
    .kernarg_segment_align: 8
    .kernarg_segment_size: 104
    .language:       OpenCL C
    .language_version:
      - 2
      - 0
    .max_flat_workgroup_size: 204
    .name:           fft_rtc_fwd_len748_factors_17_4_11_wgs_204_tpt_68_halfLds_sp_op_CI_CI_sbrr_dirReg
    .private_segment_fixed_size: 0
    .sgpr_count:     33
    .sgpr_spill_count: 0
    .symbol:         fft_rtc_fwd_len748_factors_17_4_11_wgs_204_tpt_68_halfLds_sp_op_CI_CI_sbrr_dirReg.kd
    .uniform_work_group_size: 1
    .uses_dynamic_stack: false
    .vgpr_count:     135
    .vgpr_spill_count: 0
    .wavefront_size: 32
    .workgroup_processor_mode: 1
amdhsa.target:   amdgcn-amd-amdhsa--gfx1030
amdhsa.version:
  - 1
  - 2
...

	.end_amdgpu_metadata
